;; amdgpu-corpus repo=ROCm/rccl kind=compiled arch=gfx90a opt=O3
	.text
	.amdgcn_target "amdgcn-amd-amdhsa--gfx90a"
	.amdhsa_code_object_version 6
	.p2align	2                               ; -- Begin function _ZN12_GLOBAL__N_17runRingI14__hip_fp8_e5m213FuncPreMulSumIS1_E7ProtoLLLi0ELi1ELi0EEEviiP15ncclDevWorkColl
	.type	_ZN12_GLOBAL__N_17runRingI14__hip_fp8_e5m213FuncPreMulSumIS1_E7ProtoLLLi0ELi1ELi0EEEviiP15ncclDevWorkColl,@function
_ZN12_GLOBAL__N_17runRingI14__hip_fp8_e5m213FuncPreMulSumIS1_E7ProtoLLLi0ELi1ELi0EEEviiP15ncclDevWorkColl: ; @_ZN12_GLOBAL__N_17runRingI14__hip_fp8_e5m213FuncPreMulSumIS1_E7ProtoLLLi0ELi1ELi0EEEviiP15ncclDevWorkColl
; %bb.0:
	s_waitcnt vmcnt(0) expcnt(0) lgkmcnt(0)
	s_or_saveexec_b64 s[4:5], -1
	buffer_store_dword v63, off, s[0:3], s32 offset:152 ; 4-byte Folded Spill
	s_mov_b64 exec, s[4:5]
	buffer_store_dword v40, off, s[0:3], s32 offset:148 ; 4-byte Folded Spill
	buffer_store_dword v41, off, s[0:3], s32 offset:144 ; 4-byte Folded Spill
	;; [unrolled: 1-line block ×37, first 2 shown]
	buffer_store_dword a55, off, s[0:3], s32 ; 4-byte Folded Spill
	v_writelane_b32 v63, s34, 0
	v_writelane_b32 v63, s35, 1
	;; [unrolled: 1-line block ×46, first 2 shown]
	s_trap 2
	flat_load_dword v7, v[2:3]
	flat_load_dwordx4 v[12:15], v[2:3] offset:72
	flat_load_dwordx2 v[18:19], v[2:3] offset:88
	ds_read_b32 v5, v0
	ds_read_b64 a[6:7], v0
	v_mov_b32_e32 v20, v1
                                        ; implicit-def: $agpr8_agpr9
	s_waitcnt lgkmcnt(0)
	v_readfirstlane_b32 s20, v5
	s_waitcnt vmcnt(0)
	v_not_b32_sdwa v6, v7 dst_sel:DWORD dst_unused:UNUSED_PAD src0_sel:BYTE_0
	v_add_u32_sdwa v4, v7, v6 dst_sel:DWORD dst_unused:UNUSED_PAD src0_sel:BYTE_1 src1_sel:DWORD
	v_ashrrev_i32_e32 v10, 31, v4
	v_mul_lo_u32 v11, v15, v4
	v_mad_u64_u32 v[8:9], s[4:5], v14, v4, 0
	v_accvgpr_write_b32 a2, v12
	v_mul_lo_u32 v4, v14, v10
	v_accvgpr_write_b32 a3, v13
	v_accvgpr_write_b32 a4, v14
	;; [unrolled: 1-line block ×3, first 2 shown]
	v_add3_u32 v4, v9, v4, v11
	v_cmp_ne_u32_sdwa s[4:5], v7, v5 src0_sel:BYTE_0 src1_sel:DWORD
                                        ; implicit-def: $vgpr10_vgpr11
	s_and_saveexec_b64 s[6:7], s[4:5]
	s_xor_b64 s[4:5], exec, s[6:7]
	s_cbranch_execz .LBB0_6
; %bb.1:
	v_cmp_ne_u32_sdwa s[6:7], v7, v5 src0_sel:BYTE_1 src1_sel:DWORD
                                        ; implicit-def: $vgpr10_vgpr11
                                        ; implicit-def: $agpr8_agpr9
	s_and_saveexec_b64 s[10:11], s[6:7]
	s_xor_b64 s[6:7], exec, s[10:11]
	s_cbranch_execz .LBB0_3
; %bb.2:
	flat_load_dwordx2 v[10:11], v[2:3] offset:96
	v_add_u32_e32 v5, v5, v6
	v_accvgpr_read_b32 v15, a5
	v_ashrrev_i32_e32 v6, 31, v5
	v_accvgpr_read_b32 v14, a4
	v_accvgpr_read_b32 v13, a3
	;; [unrolled: 1-line block ×3, first 2 shown]
	v_mul_lo_u32 v6, v14, v6
	v_mul_lo_u32 v7, v15, v5
	v_mad_u64_u32 v[12:13], s[10:11], v14, v5, v[12:13]
	v_add3_u32 v13, v7, v13, v6
	v_accvgpr_write_b32 a8, v12
	v_accvgpr_write_b32 a9, v13
	s_waitcnt vmcnt(0) lgkmcnt(0)
	v_lshrrev_b64 v[10:11], 17, v[10:11]
.LBB0_3:
	s_andn2_saveexec_b64 s[6:7], s[6:7]
	s_cbranch_execz .LBB0_5
; %bb.4:
	flat_load_dword v5, v[2:3] offset:100
	v_accvgpr_read_b32 v13, a3
	v_accvgpr_read_b32 v12, a2
	v_add_co_u32_e32 v6, vcc, v8, v12
	v_addc_co_u32_e32 v7, vcc, v4, v13, vcc
	v_accvgpr_write_b32 a9, v7
	v_pk_mov_b32 v[14:15], v[18:19], v[18:19] op_sel:[0,1]
	v_accvgpr_write_b32 a2, v12
	v_accvgpr_write_b32 a8, v6
	v_accvgpr_write_b32 a3, v13
	v_accvgpr_write_b32 a4, v14
	v_accvgpr_write_b32 a5, v15
	s_waitcnt vmcnt(0) lgkmcnt(0)
	v_lshrrev_b32_e32 v10, 6, v5
.LBB0_5:
	s_or_b64 exec, exec, s[6:7]
.LBB0_6:
	s_andn2_saveexec_b64 s[4:5], s[4:5]
	s_cbranch_execz .LBB0_8
; %bb.7:
	flat_load_dwordx2 v[6:7], v[2:3] offset:96
	v_pk_mov_b32 v[10:11], 0, 0
	v_accvgpr_write_b32 a8, v10
	v_accvgpr_mov_b32 a5, a3
	v_accvgpr_write_b32 a9, v11
	v_accvgpr_mov_b32 a4, a2
	s_waitcnt vmcnt(0) lgkmcnt(0)
	v_lshlrev_b64 v[10:11], 4, v[6:7]
.LBB0_8:
	s_or_b64 exec, exec, s[4:5]
	flat_load_dwordx2 v[14:15], v[2:3] offset:104
	flat_load_dwordx4 a[10:13], v[2:3] offset:16
	flat_load_ushort v13, v[2:3] offset:8
	flat_load_dword v12, v[2:3] offset:4
	v_mov_b32_e32 v2, 0
	s_mov_b32 s13, 0
	v_mov_b32_e32 v62, 0
	s_waitcnt vmcnt(0) lgkmcnt(0)
	v_cmp_ne_u16_sdwa s[6:7], v14, v2 src0_sel:BYTE_0 src1_sel:DWORD
	s_and_saveexec_b64 s[4:5], s[6:7]
	s_cbranch_execz .LBB0_16
; %bb.9:
	v_bfe_i32 v3, v14, 0, 8
	s_movk_i32 s6, 0xff80
	v_cmp_ne_u16_e32 vcc, s6, v3
	v_bfrev_b32_e32 v62, 1
	s_and_saveexec_b64 s[6:7], vcc
	s_cbranch_execz .LBB0_15
; %bb.10:
	s_movk_i32 s10, 0x7c
	v_and_b32_e32 v6, 0x7c, v14
	v_and_b32_e32 v5, 3, v14
	v_cmp_ne_u32_e32 vcc, s10, v6
                                        ; implicit-def: $vgpr62
	s_and_saveexec_b64 s[10:11], vcc
	s_xor_b64 s[10:11], exec, s[10:11]
	s_cbranch_execz .LBB0_12
; %bb.11:
	v_ffbh_u32_e32 v6, v5
	v_min_u32_e32 v11, 32, v6
	v_subrev_u32_e32 v6, 29, v11
	v_bfe_u32 v9, v14, 2, 5
	v_lshlrev_b64 v[6:7], v6, v[14:15]
	v_sub_u32_e32 v7, 30, v11
	v_and_b32_e32 v6, 3, v6
	v_cmp_eq_u32_e32 vcc, 0, v9
	v_cndmask_b32_e32 v7, v9, v7, vcc
	v_cndmask_b32_e32 v5, v5, v6, vcc
	v_bfrev_b32_e32 v6, 28
	v_bfe_i32 v3, v3, 0, 16
	v_lshl_add_u32 v6, v7, 23, v6
	s_brev_b32 s14, 1
	v_and_or_b32 v3, v3, s14, v6
	v_lshl_or_b32 v62, v5, 21, v3
                                        ; implicit-def: $vgpr5
                                        ; implicit-def: $vgpr3
.LBB0_12:
	s_andn2_saveexec_b64 s[10:11], s[10:11]
; %bb.13:
	v_mov_b32_e32 v6, 0xc7600000
	v_mov_b32_e32 v7, 0x47600000
	v_cmp_lt_i16_e32 vcc, -1, v3
	v_cndmask_b32_e32 v3, v6, v7, vcc
	v_mov_b32_e32 v6, 0x7f800001
	v_cmp_eq_u32_e32 vcc, 0, v5
	v_cndmask_b32_e32 v62, v6, v3, vcc
; %bb.14:
	s_or_b64 exec, exec, s[10:11]
.LBB0_15:
	s_or_b64 exec, exec, s[6:7]
.LBB0_16:
	s_or_b64 exec, exec, s[4:5]
	s_load_dword s4, s[8:9], 0x0
	v_lshrrev_b64 v[6:7], 31, v[12:13]
	v_mov_b32_e32 v12, v0
	v_and_b32_e32 v5, 63, v12
	v_and_b32_e32 v6, 3, v6
	s_waitcnt lgkmcnt(0)
	s_cmp_lt_u32 s12, s4
	s_cselect_b32 s4, 12, 18
	s_add_u32 s4, s8, s4
	s_addc_u32 s5, s9, 0
	global_load_ushort v9, v2, s[4:5]
	s_trap 2
	ds_read_b32 v2, v0
	v_pk_mov_b32 v[22:23], 0, 0
	v_cmp_eq_u32_e64 s[4:5], 0, v5
	s_waitcnt lgkmcnt(0)
	v_cmp_gt_i32_e32 vcc, 0, v2
	v_readfirstlane_b32 s8, v2
	s_cbranch_vccnz .LBB0_18
; %bb.17:
	s_trap 2
	ds_read_b64 v[12:13], v0
	v_mov_b32_e32 v3, 0
	v_lshlrev_b64 v[2:3], 3, v[2:3]
	v_and_b32_e32 v7, 0xffff, v6
	s_movk_i32 s6, 0xa8
	s_waitcnt lgkmcnt(0)
	v_add_co_u32_e32 v2, vcc, v12, v2
	v_addc_co_u32_e32 v3, vcc, v13, v3, vcc
	flat_load_dwordx2 v[2:3], v[2:3]
	s_mov_b32 s13, 1
	s_waitcnt vmcnt(0) lgkmcnt(0)
	v_mad_u64_u32 v[2:3], s[6:7], v7, s6, v[2:3]
	flat_load_dwordx2 a[18:19], v[2:3] offset:504
	flat_load_dwordx2 v[34:35], v[2:3] offset:608
	v_add_co_u32_e32 v2, vcc, 0x1f8, v2
	v_addc_co_u32_e32 v3, vcc, 0, v3, vcc
	v_cndmask_b32_e64 v25, 0, v3, s[4:5]
	v_cndmask_b32_e64 v24, 0, v2, s[4:5]
	s_branch .LBB0_19
.LBB0_18:
	v_pk_mov_b32 v[24:25], v[22:23], v[22:23] op_sel:[0,1]
                                        ; implicit-def: $vgpr34_vgpr35
                                        ; implicit-def: $agpr18_agpr19
.LBB0_19:
	s_trap 2
	ds_read_b32 v2, v0
	s_waitcnt lgkmcnt(0)
	v_cmp_gt_i32_e32 vcc, 0, v2
	s_cbranch_vccnz .LBB0_21
; %bb.20:
	s_trap 2
	ds_read_b64 v[12:13], v0
	v_mov_b32_e32 v3, 0
	v_lshlrev_b64 v[2:3], 3, v[2:3]
	v_and_b32_e32 v6, 0xffff, v6
	s_movk_i32 s4, 0xa8
	s_waitcnt lgkmcnt(0)
	v_add_co_u32_e32 v2, vcc, v12, v2
	v_addc_co_u32_e32 v3, vcc, v13, v3, vcc
	flat_load_dwordx2 v[2:3], v[2:3]
	v_cmp_eq_u32_e32 vcc, 0, v5
	s_waitcnt vmcnt(0) lgkmcnt(0)
	v_mad_u64_u32 v[2:3], s[4:5], v6, s4, v[2:3]
	flat_load_dwordx2 a[24:25], v[2:3]
	flat_load_dwordx2 v[16:17], v[2:3] offset:104
	v_cndmask_b32_e32 v23, 0, v3, vcc
	v_cndmask_b32_e32 v22, 0, v2, vcc
	s_branch .LBB0_22
.LBB0_21:
                                        ; implicit-def: $vgpr16_vgpr17
                                        ; implicit-def: $agpr24_agpr25
.LBB0_22:
	v_subrev_u32_e32 v2, 64, v20
	v_mov_b32_e32 v6, v0
	v_cmp_le_i32_e32 vcc, v2, v6
	v_pk_mov_b32 v[2:3], 0, 0
	v_cmp_gt_u32_e64 s[4:5], s13, v5
	v_accvgpr_write_b32 a21, v3
	v_accvgpr_write_b32 a29, v3
	s_and_b64 s[22:23], vcc, s[4:5]
	v_accvgpr_write_b32 a20, v2
	v_accvgpr_write_b32 a28, v2
                                        ; implicit-def: $agpr26_agpr27
	s_and_saveexec_b64 s[4:5], s[22:23]
	s_cbranch_execz .LBB0_24
; %bb.23:
	flat_load_dwordx2 a[28:29], v[24:25] offset:56
	flat_load_dwordx2 a[26:27], v[24:25] offset:104
.LBB0_24:
	s_or_b64 exec, exec, s[4:5]
	v_mov_b32_e32 v2, v0
	v_accvgpr_read_b32 v51, a21
	v_cmp_gt_i32_e64 s[4:5], s13, v2
	v_accvgpr_read_b32 v50, a20
                                        ; implicit-def: $vgpr52_vgpr53
	s_and_saveexec_b64 s[6:7], s[4:5]
	s_cbranch_execz .LBB0_26
; %bb.25:
	flat_load_dwordx2 v[50:51], v[22:23] offset:56
	s_waitcnt vmcnt(0) lgkmcnt(0)
	flat_load_dwordx2 v[52:53], v[50:51] glc
	s_waitcnt vmcnt(0)
	flat_load_dwordx4 a[20:23], v[22:23] offset:96
.LBB0_26:
	s_or_b64 exec, exec, s[6:7]
	v_accvgpr_read_b32 v15, a5
	v_accvgpr_read_b32 v14, a4
	;; [unrolled: 1-line block ×4, first 2 shown]
	v_cmp_ne_u64_e32 vcc, 0, v[14:15]
	v_pk_mov_b32 v[42:43], 0, 0
	s_and_saveexec_b64 s[24:25], vcc
	s_cbranch_execz .LBB0_1148
; %bb.27:
	v_add_co_u32_e32 v1, vcc, v18, v12
	s_ashr_i32 s6, s8, 31
	v_addc_co_u32_e32 v2, vcc, v19, v13, vcc
	s_lshr_b32 s6, s6, 29
	v_add_co_u32_e32 v1, vcc, v1, v8
	s_ashr_i32 s21, s20, 31
	s_add_i32 s8, s8, s6
	v_accvgpr_write_b32 a3, v1
	v_addc_co_u32_e32 v1, vcc, v2, v4, vcc
	s_lshl_b64 s[6:7], s[20:21], 2
	v_accvgpr_read_b32 v2, a6
	v_accvgpr_write_b32 a32, v1
	v_mov_b32_e32 v1, s7
	v_accvgpr_read_b32 v3, a7
	v_add_co_u32_e32 v2, vcc, s6, v2
	v_addc_co_u32_e32 v1, vcc, v3, v1, vcc
	v_add_co_u32_e32 v2, vcc, -4, v2
	v_addc_co_u32_e32 v3, vcc, -1, v1, vcc
	v_accvgpr_write_b32 a35, v3
	v_accvgpr_write_b32 a34, v2
	s_waitcnt vmcnt(0) lgkmcnt(0)
	v_accvgpr_read_b32 v2, a20
	v_mov_b32_e32 v55, 0
	v_accvgpr_read_b32 v3, a21
	v_accvgpr_read_b32 v4, a22
	;; [unrolled: 1-line block ×3, first 2 shown]
	v_and_b32_e32 v1, 63, v31
	v_ashrrev_i32_e32 v21, 31, v20
	s_ashr_i32 s10, s8, 3
	s_ashr_i32 s60, s8, 7
	v_and_b32_e32 v6, 0x1fffff0, v10
	v_mov_b32_e32 v7, v55
	v_cmp_ne_u64_e64 s[8:9], 0, v[2:3]
	v_cmp_eq_u32_e64 s[12:13], 0, v1
	v_lshrrev_b32_e32 v1, 26, v21
	v_accvgpr_read_b32 v2, a10
	v_accvgpr_write_b32 a1, v9
	v_cmp_ne_u32_sdwa s[28:29], v9, v20 src0_sel:WORD_0 src1_sel:DWORD
	v_pk_mov_b32 v[8:9], v[6:7], v[6:7] op_sel:[0,1]
	v_add_u32_e32 v1, v20, v1
	v_lshlrev_b32_e32 v6, 3, v0
	v_accvgpr_read_b32 v4, a12
	v_ashrrev_i32_e32 v10, 6, v1
	v_ashrrev_i32_e32 v1, 31, v6
	v_accvgpr_read_b32 v5, a13
	v_add_co_u32_e32 v7, vcc, v4, v6
	v_addc_co_u32_e32 v11, vcc, v5, v1, vcc
	v_accvgpr_read_b32 v3, a11
	v_add_co_u32_e32 v2, vcc, v2, v6
	v_accvgpr_write_b32 a40, v2
	v_accvgpr_write_b32 a33, v1
	v_addc_co_u32_e32 v1, vcc, v3, v1, vcc
	v_accvgpr_read_b32 v2, a8
	v_accvgpr_read_b32 v3, a9
	v_add_co_u32_e32 v2, vcc, v7, v2
	v_accvgpr_write_b32 a41, v1
	v_addc_co_u32_e32 v3, vcc, v11, v3, vcc
	v_lshlrev_b32_e32 v1, 6, v20
	v_accvgpr_write_b32 a43, v3
	v_accvgpr_write_b32 a44, v1
	v_ashrrev_i32_e32 v1, 31, v0
	v_accvgpr_write_b32 a42, v2
	v_accvgpr_write_b32 a2, v0
	v_lshlrev_b64 v[0:1], 4, v[0:1]
	v_accvgpr_read_b32 v2, a24
	s_and_b32 s21, s10, -16
	v_accvgpr_read_b32 v4, a28
	v_accvgpr_read_b32 v3, a25
	v_add_co_u32_e32 v0, vcc, v2, v0
	v_accvgpr_write_b32 a16, v24
	v_accvgpr_write_b32 a14, v22
	s_cmp_gt_i32 s20, 2
	v_accvgpr_read_b32 v5, a29
	v_accvgpr_write_b32 a45, v0
	v_addc_co_u32_e32 v0, vcc, v3, v1, vcc
	s_mov_b32 s36, -1
	v_ashrrev_i32_e32 v1, 31, v10
	v_lshlrev_b32_e32 v56, 3, v20
	v_pk_mov_b32 v[44:45], 0, 0
	v_accvgpr_write_b32 a10, v50
	v_accvgpr_write_b32 a31, v9
	;; [unrolled: 1-line block ×4, first 2 shown]
	s_mov_b64 s[26:27], 0
	v_cmp_ne_u64_e64 s[6:7], 0, v[50:51]
	v_cmp_ne_u32_e64 s[10:11], 64, v20
	v_accvgpr_write_b32 a0, v31
	s_cselect_b64 s[30:31], -1, 0
	v_cmp_ne_u64_e64 s[14:15], 0, v[4:5]
	v_accvgpr_write_b32 a38, v6
	v_accvgpr_write_b32 a37, v7
	;; [unrolled: 1-line block ×4, first 2 shown]
	s_movk_i32 s61, 0x2710
	s_mov_b64 s[34:35], 0x7ffffff8
	s_movk_i32 s62, 0xff
	s_movk_i32 s63, 0xff80
	s_movk_i32 s64, 0x7c
	s_brev_b32 s65, 1
	s_mov_b32 s37, 0xffffff
	s_movk_i32 s66, 0x80
	s_mov_b64 s[38:39], 0x7f800000
	s_mov_b64 s[40:41], 0x47600001
	s_movk_i32 s67, 0x72
	s_mov_b64 s[42:43], 0xffffff
	s_movk_i32 s68, 0x7f
	s_mov_b32 s69, 0x7c0000
	s_brev_b32 s70, 62
	s_mov_b32 s71, 0xc0c0500
	s_mov_b32 s72, 0x6050400
	;; [unrolled: 1-line block ×5, first 2 shown]
	v_bfrev_b32_e32 v7, 28
	v_mov_b32_e32 v47, -1
	v_mov_b32_e32 v24, 0xc7600000
	v_mov_b32_e32 v25, 0x47600000
	;; [unrolled: 1-line block ×6, first 2 shown]
	v_accvgpr_write_b32 a36, v10
	v_accvgpr_write_b32 a47, v1
	v_ashrrev_i32_e32 v57, 31, v56
	v_lshlrev_b64 v[58:59], 4, v[20:21]
	v_pk_mov_b32 v[42:43], v[44:45], v[44:45] op_sel:[0,1]
	v_pk_mov_b32 v[4:5], v[14:15], v[14:15] op_sel:[0,1]
	v_accvgpr_write_b32 a11, v51
	v_accvgpr_write_b32 a30, v8
	s_branch .LBB0_29
.LBB0_28:                               ;   in Loop: Header=BB0_29 Depth=1
	s_or_b64 exec, exec, s[16:17]
	v_add_co_u32_e32 v34, vcc, 1, v34
	v_addc_co_u32_e32 v35, vcc, 0, v35, vcc
	v_add_co_u32_e32 v44, vcc, v44, v8
	v_addc_co_u32_e32 v45, vcc, 0, v45, vcc
	v_cmp_ge_u64_e32 vcc, v[44:45], v[4:5]
	v_accvgpr_read_b32 v0, a42
	s_or_b64 s[26:27], vcc, s[26:27]
	v_accvgpr_read_b32 v1, a43
	v_add_co_u32_e32 v0, vcc, v0, v8
	v_addc_co_u32_e32 v1, vcc, 0, v1, vcc
	v_accvgpr_write_b32 a43, v1
	v_accvgpr_write_b32 a42, v0
	s_andn2_b64 exec, exec, s[26:27]
	s_cbranch_execz .LBB0_1147
.LBB0_29:                               ; =>This Loop Header: Depth=1
                                        ;     Child Loop BB0_36 Depth 2
                                        ;     Child Loop BB0_53 Depth 2
	;; [unrolled: 1-line block ×5, first 2 shown]
                                        ;       Child Loop BB0_253 Depth 3
                                        ;       Child Loop BB0_269 Depth 3
	;; [unrolled: 1-line block ×3, first 2 shown]
                                        ;         Child Loop BB0_290 Depth 4
                                        ;       Child Loop BB0_690 Depth 3
                                        ;       Child Loop BB0_246 Depth 3
                                        ;     Child Loop BB0_707 Depth 2
                                        ;       Child Loop BB0_715 Depth 3
                                        ;     Child Loop BB0_1134 Depth 2
	v_accvgpr_read_b32 v0, a34
	v_accvgpr_read_b32 v1, a35
	s_waitcnt vmcnt(0) lgkmcnt(0)
	flat_load_dword v2, v[0:1]
	v_sub_co_u32_e32 v0, vcc, v4, v44
	v_subb_co_u32_e32 v1, vcc, v5, v45, vcc
	v_cmp_lt_u64_e32 vcc, v[8:9], v[0:1]
	v_cndmask_b32_e32 v3, v0, v8, vcc
	v_lshl_add_u32 v0, v3, 1, 14
	v_and_b32_e32 v0, 0x7fffff0, v0
	v_accvgpr_write_b32 a50, v0
	s_and_saveexec_b64 s[16:17], s[6:7]
	s_cbranch_execz .LBB0_45
; %bb.30:                               ;   in Loop: Header=BB0_29 Depth=1
	v_accvgpr_read_b32 v8, a20
	v_accvgpr_read_b32 v10, a22
	;; [unrolled: 1-line block ×3, first 2 shown]
	v_add_co_u32_e32 v0, vcc, 1, v10
	v_addc_co_u32_e32 v1, vcc, 0, v11, vcc
	v_add_co_u32_e32 v4, vcc, 8, v52
	v_addc_co_u32_e32 v5, vcc, 0, v53, vcc
	v_cmp_lt_u64_e32 vcc, v[4:5], v[0:1]
	v_accvgpr_read_b32 v9, a21
	s_and_saveexec_b64 s[18:19], vcc
	s_cbranch_execz .LBB0_42
; %bb.31:                               ;   in Loop: Header=BB0_29 Depth=1
	s_sleep 1
	flat_load_dwordx2 v[52:53], v[50:51] glc
	v_cmp_eq_u32_e32 vcc, 0, v30
	s_and_saveexec_b64 s[44:45], vcc
	s_cbranch_execz .LBB0_41
; %bb.32:                               ;   in Loop: Header=BB0_29 Depth=1
	v_cndmask_b32_e64 v4, 0, 1, vcc
	s_mov_b64 s[46:47], 0
                                        ; implicit-def: $sgpr48_sgpr49
	s_branch .LBB0_36
.LBB0_33:                               ;   in Loop: Header=BB0_36 Depth=2
	s_or_b64 exec, exec, s[56:57]
	s_orn2_b64 s[54:55], s[54:55], exec
.LBB0_34:                               ;   in Loop: Header=BB0_36 Depth=2
	s_or_b64 exec, exec, s[52:53]
	s_xor_b64 vcc, s[54:55], -1
	s_andn2_b64 s[48:49], s[48:49], exec
	s_and_b64 vcc, vcc, exec
	s_or_b64 s[48:49], s[48:49], vcc
.LBB0_35:                               ;   in Loop: Header=BB0_36 Depth=2
	s_or_b64 exec, exec, s[50:51]
	s_and_b64 vcc, exec, s[48:49]
	s_or_b64 s[46:47], vcc, s[46:47]
	s_andn2_b64 exec, exec, s[46:47]
	s_cbranch_execz .LBB0_40
.LBB0_36:                               ;   Parent Loop BB0_29 Depth=1
                                        ; =>  This Inner Loop Header: Depth=2
	s_waitcnt vmcnt(0) lgkmcnt(0)
	v_add_co_u32_e32 v8, vcc, 8, v52
	v_addc_co_u32_e32 v9, vcc, 0, v53, vcc
	v_cmp_lt_u64_e32 vcc, v[8:9], v[0:1]
	v_mov_b32_e32 v30, 0
	s_or_b64 s[48:49], s[48:49], exec
	s_and_saveexec_b64 s[50:51], vcc
	s_cbranch_execz .LBB0_35
; %bb.37:                               ;   in Loop: Header=BB0_36 Depth=2
	s_sleep 1
	flat_load_dwordx2 v[52:53], v[50:51] glc
	v_add_u32_e32 v4, 1, v4
	v_cmp_eq_u32_e32 vcc, s61, v4
	s_mov_b64 s[54:55], -1
	v_mov_b32_e32 v30, 0
	s_and_saveexec_b64 s[52:53], vcc
	s_cbranch_execz .LBB0_34
; %bb.38:                               ;   in Loop: Header=BB0_36 Depth=2
	s_trap 2
	ds_read_b64 v[4:5], v0
	v_mov_b32_e32 v30, 0
	s_waitcnt vmcnt(0) lgkmcnt(0)
	flat_load_dword v5, v[4:5] glc
	s_waitcnt vmcnt(0) lgkmcnt(0)
	buffer_invl2
	buffer_wbinvl1_vol
	v_mov_b32_e32 v4, 0
	v_cmp_ne_u32_e32 vcc, 0, v5
	s_and_saveexec_b64 s[56:57], vcc
	s_cbranch_execz .LBB0_33
; %bb.39:                               ;   in Loop: Header=BB0_36 Depth=2
	v_mov_b32_e32 v30, 1
	s_xor_b64 s[54:55], exec, -1
	ds_write_b32 v0, v5
	s_trap 2
	s_branch .LBB0_33
.LBB0_40:                               ;   in Loop: Header=BB0_29 Depth=1
	s_or_b64 exec, exec, s[46:47]
.LBB0_41:                               ;   in Loop: Header=BB0_29 Depth=1
	s_or_b64 exec, exec, s[44:45]
.LBB0_42:                               ;   in Loop: Header=BB0_29 Depth=1
	s_or_b64 exec, exec, s[18:19]
	s_and_saveexec_b64 s[18:19], s[8:9]
	s_cbranch_execz .LBB0_44
; %bb.43:                               ;   in Loop: Header=BB0_29 Depth=1
	v_accvgpr_read_b32 v10, a20
	v_accvgpr_read_b32 v12, a22
	v_and_b32_e32 v54, 0x7ffffff8, v12
	v_mov_b32_e32 v4, s21
	v_cmp_eq_u64_e32 vcc, s[34:35], v[54:55]
	v_accvgpr_read_b32 v5, a50
	v_accvgpr_read_b32 v11, a21
	v_cndmask_b32_e32 v4, v5, v4, vcc
	v_and_b32_e32 v8, 7, v12
	v_ashrrev_i32_e32 v5, 31, v4
	v_mad_u64_u32 v[8:9], vcc, v8, 24, v[10:11]
	flat_store_dwordx2 v[8:9], v[4:5] offset:8
	s_waitcnt vmcnt(0)
.LBB0_44:                               ;   in Loop: Header=BB0_29 Depth=1
	s_or_b64 exec, exec, s[18:19]
	v_accvgpr_write_b32 a23, v1
	v_accvgpr_read_b32 v8, a30
	v_accvgpr_write_b32 a22, v0
	v_accvgpr_read_b32 v9, a31
.LBB0_45:                               ;   in Loop: Header=BB0_29 Depth=1
	s_or_b64 exec, exec, s[16:17]
	s_and_saveexec_b64 s[16:17], s[10:11]
	s_cbranch_execz .LBB0_64
; %bb.46:                               ;   in Loop: Header=BB0_29 Depth=1
	s_and_saveexec_b64 s[18:19], s[28:29]
	s_xor_b64 s[18:19], exec, s[18:19]
	s_cbranch_execz .LBB0_61
; %bb.47:                               ;   in Loop: Header=BB0_29 Depth=1
	s_and_saveexec_b64 s[44:45], s[12:13]
	s_cbranch_execz .LBB0_60
; %bb.48:                               ;   in Loop: Header=BB0_29 Depth=1
	s_mov_b64 s[48:49], exec
	v_mbcnt_lo_u32_b32 v0, s48, 0
	v_mbcnt_hi_u32_b32 v0, s49, v0
	v_cmp_eq_u32_e32 vcc, 0, v0
	s_waitcnt vmcnt(0) lgkmcnt(0)
	buffer_wbinvl1_vol
	s_and_saveexec_b64 s[46:47], vcc
	s_cbranch_execz .LBB0_50
; %bb.49:                               ;   in Loop: Header=BB0_29 Depth=1
	s_bcnt1_i32_b64 vcc_lo, s[48:49]
	v_mov_b32_e32 v54, vcc_lo
	ds_add_u64 v0, v[54:55]
	s_trap 2
.LBB0_50:                               ;   in Loop: Header=BB0_29 Depth=1
	s_or_b64 exec, exec, s[46:47]
	s_trap 2
	ds_read_b64 v[0:1], v0
	v_accvgpr_read_b32 v4, a36
	v_add_co_u32_e32 v42, vcc, v42, v4
	v_accvgpr_read_b32 v5, a47
	v_addc_co_u32_e32 v43, vcc, v43, v5, vcc
	s_waitcnt lgkmcnt(0)
	v_cmp_lt_u64_e32 vcc, v[0:1], v[42:43]
	s_and_saveexec_b64 s[46:47], vcc
	s_cbranch_execz .LBB0_59
; %bb.51:                               ;   in Loop: Header=BB0_29 Depth=1
	s_mov_b32 s58, 0
	s_mov_b64 s[48:49], 0
                                        ; implicit-def: $sgpr50_sgpr51
                                        ; implicit-def: $sgpr52_sgpr53
	s_branch .LBB0_53
.LBB0_52:                               ;   in Loop: Header=BB0_53 Depth=2
	s_or_b64 exec, exec, s[56:57]
	s_and_b64 vcc, exec, vcc
	s_or_b64 s[48:49], vcc, s[48:49]
	s_andn2_b64 vcc, s[50:51], exec
	s_and_b64 s[50:51], s[52:53], exec
	s_or_b64 s[50:51], vcc, s[50:51]
	s_andn2_b64 exec, exec, s[48:49]
	s_cbranch_execz .LBB0_57
.LBB0_53:                               ;   Parent Loop BB0_29 Depth=1
                                        ; =>  This Inner Loop Header: Depth=2
	s_add_i32 s58, s58, 1
	s_cmpk_lg_i32 s58, 0x2710
	s_cselect_b64 s[54:55], -1, 0
	s_and_b64 vcc, exec, s[54:55]
                                        ; implicit-def: $sgpr56_sgpr57
	s_cbranch_vccnz .LBB0_55
; %bb.54:                               ;   in Loop: Header=BB0_53 Depth=2
	s_trap 2
	ds_read_b64 v[0:1], v0
	s_andn2_b64 s[54:55], s[54:55], exec
	s_mov_b32 s58, 0
	s_mov_b64 s[56:57], -1
	s_waitcnt lgkmcnt(0)
	flat_load_dword v0, v[0:1] glc
	s_waitcnt vmcnt(0) lgkmcnt(0)
	buffer_invl2
	buffer_wbinvl1_vol
	v_cmp_eq_u32_e32 vcc, 0, v0
	s_and_b64 vcc, vcc, exec
	s_or_b64 s[54:55], s[54:55], vcc
.LBB0_55:                               ;   in Loop: Header=BB0_53 Depth=2
	s_andn2_b64 s[52:53], s[52:53], exec
	s_and_b64 s[56:57], s[56:57], exec
	s_mov_b64 vcc, -1
	s_or_b64 s[52:53], s[52:53], s[56:57]
	s_and_saveexec_b64 s[56:57], s[54:55]
	s_cbranch_execz .LBB0_52
; %bb.56:                               ;   in Loop: Header=BB0_53 Depth=2
	s_sleep 1
	s_trap 2
	ds_read_b64 v[0:1], v0
	s_andn2_b64 s[52:53], s[52:53], exec
	s_waitcnt lgkmcnt(0)
	v_cmp_ge_u64_e32 vcc, v[0:1], v[42:43]
	s_orn2_b64 vcc, vcc, exec
	s_branch .LBB0_52
.LBB0_57:                               ;   in Loop: Header=BB0_29 Depth=1
	s_or_b64 exec, exec, s[48:49]
	s_and_saveexec_b64 vcc, s[50:51]
	s_xor_b64 vcc, exec, vcc
	s_cbranch_execz .LBB0_59
; %bb.58:                               ;   in Loop: Header=BB0_29 Depth=1
	v_mov_b32_e32 v0, 1
	ds_write_b32 v0, v0
	s_trap 2
.LBB0_59:                               ;   in Loop: Header=BB0_29 Depth=1
	s_or_b64 exec, exec, s[46:47]
	;;#ASMSTART
	s_wakeup
	;;#ASMEND
.LBB0_60:                               ;   in Loop: Header=BB0_29 Depth=1
	s_or_b64 exec, exec, s[44:45]
.LBB0_61:                               ;   in Loop: Header=BB0_29 Depth=1
	s_andn2_saveexec_b64 s[18:19], s[18:19]
	s_cbranch_execz .LBB0_63
; %bb.62:                               ;   in Loop: Header=BB0_29 Depth=1
	s_waitcnt vmcnt(0) lgkmcnt(0)
	buffer_wbinvl1_vol
	s_barrier
.LBB0_63:                               ;   in Loop: Header=BB0_29 Depth=1
	s_or_b64 exec, exec, s[18:19]
.LBB0_64:                               ;   in Loop: Header=BB0_29 Depth=1
	s_or_b64 exec, exec, s[16:17]
	v_accvgpr_read_b32 v0, a38
	v_sub_u32_e32 v46, v3, v0
	v_cmp_lt_i32_e64 s[16:17], 0, v46
	v_and_b32_e32 v1, 7, v16
	v_accvgpr_read_b32 v0, a2
	s_mov_b64 s[44:45], exec
	v_accvgpr_write_b32 a49, v45
	s_and_b64 s[18:19], s[44:45], s[16:17]
	v_accvgpr_write_b32 a48, v44
	s_mov_b64 exec, s[18:19]
	s_cbranch_execz .LBB0_232
; %bb.65:                               ;   in Loop: Header=BB0_29 Depth=1
	v_accvgpr_read_b32 v14, a42
	s_waitcnt vmcnt(0) lgkmcnt(0)
	v_ashrrev_i32_e32 v0, 31, v2
	v_accvgpr_read_b32 v12, a3
	v_accvgpr_read_b32 v15, a43
	;; [unrolled: 1-line block ×3, first 2 shown]
	v_mul_lo_u32 v4, v1, s60
	v_mad_u64_u32 v[10:11], s[18:19], v12, v2, v[14:15]
	v_mul_lo_u32 v9, v9, v2
	v_mul_lo_u32 v0, v12, v0
	v_ashrrev_i32_e32 v5, 31, v4
	v_mov_b32_e32 v3, v16
	v_add_co_u32_e64 v8, vcc, 0, 0
	v_add3_u32 v11, v9, v11, v0
	v_mul_lo_u32 v0, v12, v2
	v_addc_co_u32_e32 v3, vcc, 1, v3, vcc
	v_add_lshl_u32 v9, v14, v0, 3
	v_lshlrev_b64 v[4:5], 4, v[4:5]
	v_accvgpr_read_b32 v0, a45
	v_add_co_u32_e32 v18, vcc, v0, v4
	v_accvgpr_read_b32 v0, a46
	v_addc_co_u32_e32 v19, vcc, v0, v5, vcc
	s_mov_b64 s[46:47], 0
	v_mov_b32_e32 v21, v46
	v_accvgpr_read_b32 v0, a2
	v_accvgpr_read_b32 v12, a44
	s_branch .LBB0_67
.LBB0_66:                               ;   in Loop: Header=BB0_67 Depth=2
	s_or_b64 exec, exec, s[18:19]
	v_lshlrev_b32_e32 v5, 8, v23
	v_and_b32_e32 v2, 0xff, v26
	v_perm_b32 v5, v5, v22, s71
	v_lshlrev_b32_e32 v22, 8, v29
	v_lshlrev_b32_e32 v2, 16, v2
	v_perm_b32 v22, v22, v28, s71
	v_add_co_u32_e32 v10, vcc, v10, v56
	v_lshl_or_b32 v2, v27, 24, v2
	v_lshlrev_b32_e32 v4, 24, v4
	v_lshl_or_b32 v22, v31, 16, v22
	v_sub_u32_e32 v21, v21, v56
	v_addc_co_u32_e32 v11, vcc, v11, v57, vcc
	v_or3_b32 v2, v2, v5, v8
	v_or3_b32 v4, v4, v22, v8
	v_mov_b32_e32 v5, v3
	v_cmp_gt_i32_e32 vcc, 1, v21
	global_store_dwordx4 v[18:19], v[2:5], off
	s_or_b64 s[46:47], vcc, s[46:47]
	v_add_co_u32_e32 v18, vcc, v18, v58
	v_add_u32_e32 v0, v0, v20
	v_add_u32_e32 v9, v9, v12
	v_addc_co_u32_e32 v19, vcc, v19, v59, vcc
	s_andn2_b64 exec, exec, s[46:47]
	s_cbranch_execz .LBB0_231
.LBB0_67:                               ;   Parent Loop BB0_29 Depth=1
                                        ; =>  This Inner Loop Header: Depth=2
	v_and_b32_e32 v4, -4, v10
	v_mov_b32_e32 v5, v11
	global_load_dword v22, v[4:5], off glc slc
	v_min_u32_e32 v23, 8, v21
	v_and_b32_e32 v26, 3, v10
	v_add_co_u32_e32 v26, vcc, v26, v23
	v_addc_co_u32_e64 v27, s[18:19], 0, 0, vcc
	v_mov_b32_e32 v2, 0
	v_cmp_lt_u64_e32 vcc, 4, v[26:27]
	v_mov_b32_e32 v28, 0
	s_and_saveexec_b64 s[18:19], vcc
	s_cbranch_execz .LBB0_69
; %bb.68:                               ;   in Loop: Header=BB0_67 Depth=2
	global_load_dword v28, v[4:5], off offset:4 glc slc
.LBB0_69:                               ;   in Loop: Header=BB0_67 Depth=2
	s_or_b64 exec, exec, s[18:19]
	v_cmp_lt_u64_e32 vcc, 8, v[26:27]
	v_mov_b32_e32 v29, 0
	s_and_saveexec_b64 s[18:19], vcc
	s_cbranch_execz .LBB0_71
; %bb.70:                               ;   in Loop: Header=BB0_67 Depth=2
	global_load_dword v29, v[4:5], off offset:8 glc slc
.LBB0_71:                               ;   in Loop: Header=BB0_67 Depth=2
	s_or_b64 exec, exec, s[18:19]
	s_waitcnt vmcnt(0)
	v_alignbit_b32 v54, v28, v22, v9
	v_cmp_ne_u16_sdwa vcc, v54, v55 src0_sel:BYTE_0 src1_sel:DWORD
	s_and_saveexec_b64 s[18:19], vcc
	s_cbranch_execz .LBB0_79
; %bb.72:                               ;   in Loop: Header=BB0_67 Depth=2
	v_cmp_ne_u16_sdwa vcc, sext(v54), s63 src0_sel:BYTE_0 src1_sel:DWORD
	v_bfrev_b32_e32 v2, 1
	s_and_saveexec_b64 s[48:49], vcc
	s_cbranch_execz .LBB0_78
; %bb.73:                               ;   in Loop: Header=BB0_67 Depth=2
	v_and_b32_e32 v2, 0x7c, v54
	v_and_b32_e32 v4, 3, v54
	v_cmp_ne_u32_e32 vcc, s64, v2
                                        ; implicit-def: $vgpr2
	s_and_saveexec_b64 s[50:51], vcc
	s_xor_b64 s[50:51], exec, s[50:51]
	s_cbranch_execz .LBB0_75
; %bb.74:                               ;   in Loop: Header=BB0_67 Depth=2
	v_ffbh_u32_e32 v5, v4
	v_bfe_u32 v2, v54, 2, 5
	v_min_u32_e32 v5, 32, v5
	v_subrev_u32_e32 v22, 29, v5
	v_sub_u32_e32 v5, 30, v5
	v_cmp_eq_u32_e32 vcc, 0, v2
	v_lshlrev_b64 v[22:23], v22, v[54:55]
	v_cndmask_b32_e32 v2, v2, v5, vcc
	v_and_b32_e32 v22, 3, v22
	v_lshlrev_b32_e32 v5, 24, v54
	v_lshl_add_u32 v2, v2, 23, v7
	v_cndmask_b32_e32 v4, v4, v22, vcc
	v_and_or_b32 v2, v5, s65, v2
	v_lshl_or_b32 v2, v4, 21, v2
                                        ; implicit-def: $vgpr4
.LBB0_75:                               ;   in Loop: Header=BB0_67 Depth=2
	s_andn2_saveexec_b64 s[50:51], s[50:51]
; %bb.76:                               ;   in Loop: Header=BB0_67 Depth=2
	v_cmp_gt_i16_sdwa vcc, sext(v54), v47 src0_sel:BYTE_0 src1_sel:DWORD
	v_cndmask_b32_e32 v2, v24, v25, vcc
	v_cmp_eq_u32_e32 vcc, 0, v4
	v_cndmask_b32_e32 v2, v6, v2, vcc
; %bb.77:                               ;   in Loop: Header=BB0_67 Depth=2
	s_or_b64 exec, exec, s[50:51]
.LBB0_78:                               ;   in Loop: Header=BB0_67 Depth=2
	s_or_b64 exec, exec, s[48:49]
.LBB0_79:                               ;   in Loop: Header=BB0_67 Depth=2
	s_or_b64 exec, exec, s[18:19]
	v_mul_f32_e32 v23, v62, v2
	v_and_b32_sdwa v2, v23, s66 dst_sel:DWORD dst_unused:UNUSED_PAD src0_sel:BYTE_3 src1_sel:DWORD
	v_and_b32_e32 v26, 0x7f800000, v23
	v_mov_b32_e32 v27, v55
	v_and_b32_e32 v4, 0x7fffff, v23
	v_mov_b32_e32 v5, v55
	v_or_b32_e32 v22, 0x7b, v2
	v_cmp_ne_u64_e32 vcc, s[38:39], v[26:27]
	s_and_saveexec_b64 s[18:19], vcc
	s_xor_b64 s[48:49], exec, s[18:19]
	s_cbranch_execz .LBB0_89
; %bb.80:                               ;   in Loop: Header=BB0_67 Depth=2
	v_and_b32_e32 v26, 0x7fffffff, v23
	v_mov_b32_e32 v27, v55
	v_cmp_gt_u64_e32 vcc, s[40:41], v[26:27]
	s_and_saveexec_b64 s[50:51], vcc
	s_cbranch_execz .LBB0_88
; %bb.81:                               ;   in Loop: Header=BB0_67 Depth=2
	v_cmp_ne_u32_e32 vcc, 0, v23
	v_mov_b32_e32 v22, 0
	s_and_saveexec_b64 s[52:53], vcc
	s_cbranch_execz .LBB0_87
; %bb.82:                               ;   in Loop: Header=BB0_67 Depth=2
	v_bfe_u32 v22, v23, 23, 8
	v_sub_u32_e32 v26, 0x71, v22
	v_cmp_gt_u32_e32 vcc, s67, v22
	v_cndmask_b32_e32 v26, 0, v26, vcc
	v_cmp_eq_u32_e32 vcc, 0, v22
	v_cndmask_b32_e32 v26, v26, v49, vcc
	v_add_u32_e32 v23, 0xffffff81, v22
	v_add_u32_e32 v22, 21, v26
	v_or_b32_e32 v27, 0x800000, v4
	v_cndmask_b32_e32 v31, v23, v48, vcc
	v_lshlrev_b64 v[22:23], v22, -1
	v_cndmask_b32_e32 v4, v27, v4, vcc
	v_not_b32_e32 v22, v22
	v_and_b32_e32 v32, v4, v22
	v_add_u32_e32 v22, 20, v26
	v_lshrrev_b64 v[4:5], v26, v[4:5]
	v_not_b32_e32 v23, v23
	v_lshlrev_b64 v[36:37], v22, 1
	v_lshrrev_b32_e32 v22, 23, v4
	v_and_b32_e32 v33, 0, v23
	v_add3_u32 v26, v26, v31, v22
	v_bfe_u32 v22, v4, 21, 1
	v_add_u32_e32 v22, -1, v22
	v_cmp_eq_u64_e32 vcc, v[32:33], v[36:37]
	v_cndmask_b32_e32 v22, 0, v22, vcc
	v_add_u32_e32 v22, v22, v4
	v_and_b32_e32 v22, 0x1fffff, v22
	v_add_co_u32_e32 v4, vcc, v22, v4
	v_add_u32_e32 v23, 14, v26
	v_addc_co_u32_e32 v5, vcc, 0, v5, vcc
	v_cmp_ne_u32_e32 vcc, 0, v23
                                        ; implicit-def: $vgpr22
	s_and_saveexec_b64 s[18:19], vcc
	s_xor_b64 s[18:19], exec, s[18:19]
; %bb.83:                               ;   in Loop: Header=BB0_67 Depth=2
	v_add_u32_e32 v22, 15, v26
	v_cmp_lt_u64_e32 vcc, s[42:43], v[4:5]
	v_cndmask_b32_e32 v22, v23, v22, vcc
	v_cndmask_b32_e64 v23, 0, 1, vcc
	v_lshrrev_b64 v[4:5], v23, v[4:5]
; %bb.84:                               ;   in Loop: Header=BB0_67 Depth=2
	s_andn2_saveexec_b64 s[18:19], s[18:19]
; %bb.85:                               ;   in Loop: Header=BB0_67 Depth=2
	v_bfe_u32 v22, v4, 23, 1
; %bb.86:                               ;   in Loop: Header=BB0_67 Depth=2
	s_or_b64 exec, exec, s[18:19]
	v_lshrrev_b64 v[4:5], 21, v[4:5]
	v_cmp_gt_i32_e32 vcc, 32, v22
	v_cndmask_b32_e32 v5, 0, v5, vcc
	v_cndmask_b32_e32 v4, 3, v4, vcc
	v_cmp_eq_u64_e64 s[18:19], 0, v[4:5]
	v_min_i32_e32 v5, 31, v22
	v_cmp_eq_u32_e32 vcc, 0, v22
	v_lshlrev_b32_e32 v5, 2, v5
	v_and_or_b32 v4, v4, 3, v5
	s_and_b64 s[18:19], vcc, s[18:19]
	v_cndmask_b32_e64 v4, v4, 0, s[18:19]
	v_or_b32_e32 v22, v4, v2
.LBB0_87:                               ;   in Loop: Header=BB0_67 Depth=2
	s_or_b64 exec, exec, s[52:53]
.LBB0_88:                               ;   in Loop: Header=BB0_67 Depth=2
	s_or_b64 exec, exec, s[50:51]
                                        ; implicit-def: $vgpr23
                                        ; implicit-def: $vgpr4_vgpr5
.LBB0_89:                               ;   in Loop: Header=BB0_67 Depth=2
	s_andn2_saveexec_b64 s[18:19], s[48:49]
; %bb.90:                               ;   in Loop: Header=BB0_67 Depth=2
	v_or_b32_sdwa v2, v23, s68 dst_sel:DWORD dst_unused:UNUSED_PAD src0_sel:BYTE_3 src1_sel:DWORD
	v_cmp_eq_u64_e32 vcc, 0, v[4:5]
	v_cndmask_b32_e32 v22, v2, v22, vcc
; %bb.91:                               ;   in Loop: Header=BB0_67 Depth=2
	s_or_b64 exec, exec, s[18:19]
	v_lshrrev_b16_e32 v4, 8, v54
	v_cmp_ne_u16_e32 vcc, 0, v4
	v_mov_b32_e32 v2, 0
	s_and_saveexec_b64 s[18:19], vcc
	s_cbranch_execz .LBB0_99
; %bb.92:                               ;   in Loop: Header=BB0_67 Depth=2
	v_cmp_ne_u16_e32 vcc, s66, v4
	v_bfrev_b32_e32 v2, 1
	s_and_saveexec_b64 s[48:49], vcc
	s_cbranch_execz .LBB0_98
; %bb.93:                               ;   in Loop: Header=BB0_67 Depth=2
	v_and_b32_e32 v2, 0x7c, v4
	v_and_b32_e32 v23, 3, v4
	v_cmp_ne_u32_e32 vcc, s64, v2
                                        ; implicit-def: $vgpr2
	s_and_saveexec_b64 s[50:51], vcc
	s_xor_b64 s[50:51], exec, s[50:51]
	s_cbranch_execz .LBB0_95
; %bb.94:                               ;   in Loop: Header=BB0_67 Depth=2
	v_ffbh_u32_e32 v26, v23
	v_min_u32_e32 v26, 32, v26
	v_mov_b32_e32 v5, v55
	v_subrev_u32_e32 v27, 29, v26
	v_bfe_u32 v2, v4, 2, 5
	v_lshlrev_b64 v[4:5], v27, v[4:5]
	v_sub_u32_e32 v5, 30, v26
	v_cmp_eq_u32_e32 vcc, 0, v2
	v_cndmask_b32_e32 v2, v2, v5, vcc
	v_and_b32_e32 v4, 3, v4
	v_lshlrev_b32_e32 v5, 16, v54
	v_lshl_add_u32 v2, v2, 23, v7
	v_cndmask_b32_e32 v4, v23, v4, vcc
	v_and_or_b32 v2, v5, s65, v2
	v_lshl_or_b32 v2, v4, 21, v2
                                        ; implicit-def: $vgpr23
.LBB0_95:                               ;   in Loop: Header=BB0_67 Depth=2
	s_andn2_saveexec_b64 s[50:51], s[50:51]
; %bb.96:                               ;   in Loop: Header=BB0_67 Depth=2
	v_cmp_lt_i16_e32 vcc, -1, v54
	v_cndmask_b32_e32 v2, v24, v25, vcc
	v_cmp_eq_u32_e32 vcc, 0, v23
	v_cndmask_b32_e32 v2, v6, v2, vcc
; %bb.97:                               ;   in Loop: Header=BB0_67 Depth=2
	s_or_b64 exec, exec, s[50:51]
.LBB0_98:                               ;   in Loop: Header=BB0_67 Depth=2
	s_or_b64 exec, exec, s[48:49]
.LBB0_99:                               ;   in Loop: Header=BB0_67 Depth=2
	s_or_b64 exec, exec, s[18:19]
	v_mul_f32_e32 v26, v62, v2
	v_and_b32_sdwa v2, v26, s66 dst_sel:DWORD dst_unused:UNUSED_PAD src0_sel:BYTE_3 src1_sel:DWORD
	v_and_b32_e32 v32, 0x7f800000, v26
	v_mov_b32_e32 v33, v55
	v_and_b32_e32 v4, 0x7fffff, v26
	v_mov_b32_e32 v5, v55
	v_or_b32_e32 v23, 0x7b, v2
	v_cmp_ne_u64_e32 vcc, s[38:39], v[32:33]
	s_and_saveexec_b64 s[18:19], vcc
	s_xor_b64 s[48:49], exec, s[18:19]
	s_cbranch_execz .LBB0_109
; %bb.100:                              ;   in Loop: Header=BB0_67 Depth=2
	v_and_b32_e32 v32, 0x7fffffff, v26
	v_mov_b32_e32 v33, v55
	v_cmp_gt_u64_e32 vcc, s[40:41], v[32:33]
	s_and_saveexec_b64 s[50:51], vcc
	s_cbranch_execz .LBB0_108
; %bb.101:                              ;   in Loop: Header=BB0_67 Depth=2
	v_cmp_ne_u32_e32 vcc, 0, v26
	v_mov_b32_e32 v23, 0
	s_and_saveexec_b64 s[52:53], vcc
	s_cbranch_execz .LBB0_107
; %bb.102:                              ;   in Loop: Header=BB0_67 Depth=2
	v_bfe_u32 v23, v26, 23, 8
	v_sub_u32_e32 v27, 0x71, v23
	v_cmp_gt_u32_e32 vcc, s67, v23
	v_cndmask_b32_e32 v27, 0, v27, vcc
	v_cmp_eq_u32_e32 vcc, 0, v23
	v_add_u32_e32 v26, 0xffffff81, v23
	v_cndmask_b32_e32 v38, v27, v49, vcc
	v_cndmask_b32_e32 v23, v26, v48, vcc
	v_add_u32_e32 v26, 21, v38
	v_or_b32_e32 v31, 0x800000, v4
	v_lshlrev_b64 v[26:27], v26, -1
	v_cndmask_b32_e32 v4, v31, v4, vcc
	v_not_b32_e32 v26, v26
	v_and_b32_e32 v32, v4, v26
	v_add_u32_e32 v26, 20, v38
	v_lshrrev_b64 v[4:5], v38, v[4:5]
	v_not_b32_e32 v27, v27
	v_lshlrev_b64 v[36:37], v26, 1
	v_lshrrev_b32_e32 v26, 23, v4
	v_and_b32_e32 v33, 0, v27
	v_add3_u32 v27, v38, v23, v26
	v_bfe_u32 v23, v4, 21, 1
	v_add_u32_e32 v23, -1, v23
	v_cmp_eq_u64_e32 vcc, v[32:33], v[36:37]
	v_cndmask_b32_e32 v23, 0, v23, vcc
	v_add_u32_e32 v23, v23, v4
	v_and_b32_e32 v23, 0x1fffff, v23
	v_add_co_u32_e32 v4, vcc, v23, v4
	v_add_u32_e32 v26, 14, v27
	v_addc_co_u32_e32 v5, vcc, 0, v5, vcc
	v_cmp_ne_u32_e32 vcc, 0, v26
                                        ; implicit-def: $vgpr23
	s_and_saveexec_b64 s[18:19], vcc
	s_xor_b64 s[18:19], exec, s[18:19]
; %bb.103:                              ;   in Loop: Header=BB0_67 Depth=2
	v_add_u32_e32 v23, 15, v27
	v_cmp_lt_u64_e32 vcc, s[42:43], v[4:5]
	v_cndmask_b32_e32 v23, v26, v23, vcc
	v_cndmask_b32_e64 v26, 0, 1, vcc
	v_lshrrev_b64 v[4:5], v26, v[4:5]
; %bb.104:                              ;   in Loop: Header=BB0_67 Depth=2
	s_andn2_saveexec_b64 s[18:19], s[18:19]
; %bb.105:                              ;   in Loop: Header=BB0_67 Depth=2
	v_bfe_u32 v23, v4, 23, 1
; %bb.106:                              ;   in Loop: Header=BB0_67 Depth=2
	s_or_b64 exec, exec, s[18:19]
	v_lshrrev_b64 v[4:5], 21, v[4:5]
	v_cmp_gt_i32_e32 vcc, 32, v23
	v_cndmask_b32_e32 v5, 0, v5, vcc
	v_cndmask_b32_e32 v4, 3, v4, vcc
	v_cmp_eq_u64_e64 s[18:19], 0, v[4:5]
	v_min_i32_e32 v5, 31, v23
	v_cmp_eq_u32_e32 vcc, 0, v23
	v_lshlrev_b32_e32 v5, 2, v5
	v_and_or_b32 v4, v4, 3, v5
	s_and_b64 s[18:19], vcc, s[18:19]
	v_cndmask_b32_e64 v4, v4, 0, s[18:19]
	v_or_b32_e32 v23, v4, v2
.LBB0_107:                              ;   in Loop: Header=BB0_67 Depth=2
	s_or_b64 exec, exec, s[52:53]
.LBB0_108:                              ;   in Loop: Header=BB0_67 Depth=2
	s_or_b64 exec, exec, s[50:51]
                                        ; implicit-def: $vgpr26
                                        ; implicit-def: $vgpr4_vgpr5
.LBB0_109:                              ;   in Loop: Header=BB0_67 Depth=2
	s_andn2_saveexec_b64 s[18:19], s[48:49]
; %bb.110:                              ;   in Loop: Header=BB0_67 Depth=2
	v_or_b32_sdwa v2, v26, s68 dst_sel:DWORD dst_unused:UNUSED_PAD src0_sel:BYTE_3 src1_sel:DWORD
	v_cmp_eq_u64_e32 vcc, 0, v[4:5]
	v_cndmask_b32_e32 v23, v2, v23, vcc
; %bb.111:                              ;   in Loop: Header=BB0_67 Depth=2
	s_or_b64 exec, exec, s[18:19]
	v_and_b32_sdwa v5, v54, s62 dst_sel:DWORD dst_unused:UNUSED_PAD src0_sel:WORD_1 src1_sel:DWORD
	v_lshrrev_b32_e32 v4, 16, v54
	v_cmp_ne_u16_e32 vcc, 0, v5
	v_mov_b32_e32 v2, 0
	s_and_saveexec_b64 s[18:19], vcc
	s_cbranch_execz .LBB0_119
; %bb.112:                              ;   in Loop: Header=BB0_67 Depth=2
	v_cmp_ne_u16_e32 vcc, s66, v5
	v_bfrev_b32_e32 v2, 1
	s_and_saveexec_b64 s[48:49], vcc
	s_cbranch_execz .LBB0_118
; %bb.113:                              ;   in Loop: Header=BB0_67 Depth=2
	v_and_b32_e32 v2, 0x7c0000, v54
	v_bfe_u32 v5, v54, 16, 2
	v_cmp_ne_u32_e32 vcc, s69, v2
                                        ; implicit-def: $vgpr2
	s_and_saveexec_b64 s[50:51], vcc
	s_xor_b64 s[50:51], exec, s[50:51]
	s_cbranch_execz .LBB0_115
; %bb.114:                              ;   in Loop: Header=BB0_67 Depth=2
	v_ffbh_u32_e32 v26, v5
	v_min_u32_e32 v31, 32, v26
	v_lshrrev_b32_e32 v2, 16, v54
	v_bfe_u32 v4, v54, 18, 5
	v_subrev_u32_e32 v26, 29, v31
	v_lshlrev_b64 v[26:27], v26, v[2:3]
	v_sub_u32_e32 v2, 30, v31
	v_cmp_eq_u32_e32 vcc, 0, v4
	v_and_b32_e32 v26, 3, v26
	v_cndmask_b32_e32 v2, v4, v2, vcc
	v_cndmask_b32_e32 v4, v5, v26, vcc
	v_lshlrev_b32_e32 v5, 8, v54
	v_lshl_add_u32 v2, v2, 23, v7
	v_and_or_b32 v2, v5, s65, v2
	v_lshl_or_b32 v2, v4, 21, v2
                                        ; implicit-def: $vgpr5
                                        ; implicit-def: $vgpr4
.LBB0_115:                              ;   in Loop: Header=BB0_67 Depth=2
	s_andn2_saveexec_b64 s[50:51], s[50:51]
; %bb.116:                              ;   in Loop: Header=BB0_67 Depth=2
	v_cmp_gt_i16_sdwa vcc, sext(v4), v47 src0_sel:BYTE_0 src1_sel:DWORD
	v_cndmask_b32_e32 v2, v24, v25, vcc
	v_cmp_eq_u32_e32 vcc, 0, v5
	v_cndmask_b32_e32 v2, v6, v2, vcc
; %bb.117:                              ;   in Loop: Header=BB0_67 Depth=2
	s_or_b64 exec, exec, s[50:51]
.LBB0_118:                              ;   in Loop: Header=BB0_67 Depth=2
	s_or_b64 exec, exec, s[48:49]
.LBB0_119:                              ;   in Loop: Header=BB0_67 Depth=2
	s_or_b64 exec, exec, s[18:19]
	v_mul_f32_e32 v27, v62, v2
	v_and_b32_sdwa v2, v27, s66 dst_sel:DWORD dst_unused:UNUSED_PAD src0_sel:BYTE_3 src1_sel:DWORD
	v_and_b32_e32 v32, 0x7f800000, v27
	v_mov_b32_e32 v33, v55
	v_and_b32_e32 v4, 0x7fffff, v27
	v_mov_b32_e32 v5, v55
	v_or_b32_e32 v26, 0x7b, v2
	v_cmp_ne_u64_e32 vcc, s[38:39], v[32:33]
	s_and_saveexec_b64 s[18:19], vcc
	s_xor_b64 s[48:49], exec, s[18:19]
	s_cbranch_execz .LBB0_129
; %bb.120:                              ;   in Loop: Header=BB0_67 Depth=2
	v_and_b32_e32 v32, 0x7fffffff, v27
	v_mov_b32_e32 v33, v55
	v_cmp_gt_u64_e32 vcc, s[40:41], v[32:33]
	s_and_saveexec_b64 s[50:51], vcc
	s_cbranch_execz .LBB0_128
; %bb.121:                              ;   in Loop: Header=BB0_67 Depth=2
	v_cmp_ne_u32_e32 vcc, 0, v27
	v_mov_b32_e32 v26, 0
	s_and_saveexec_b64 s[52:53], vcc
	s_cbranch_execz .LBB0_127
; %bb.122:                              ;   in Loop: Header=BB0_67 Depth=2
	v_bfe_u32 v26, v27, 23, 8
	v_sub_u32_e32 v31, 0x71, v26
	v_cmp_gt_u32_e32 vcc, s67, v26
	v_cndmask_b32_e32 v31, 0, v31, vcc
	v_cmp_eq_u32_e32 vcc, 0, v26
	v_cndmask_b32_e32 v31, v31, v49, vcc
	v_add_u32_e32 v27, 0xffffff81, v26
	v_add_u32_e32 v26, 21, v31
	v_or_b32_e32 v32, 0x800000, v4
	v_cndmask_b32_e32 v38, v27, v48, vcc
	v_lshlrev_b64 v[26:27], v26, -1
	v_cndmask_b32_e32 v4, v32, v4, vcc
	v_not_b32_e32 v26, v26
	v_and_b32_e32 v32, v4, v26
	v_add_u32_e32 v26, 20, v31
	v_lshrrev_b64 v[4:5], v31, v[4:5]
	v_not_b32_e32 v27, v27
	v_lshlrev_b64 v[36:37], v26, 1
	v_lshrrev_b32_e32 v26, 23, v4
	v_and_b32_e32 v33, 0, v27
	v_add3_u32 v31, v31, v38, v26
	v_bfe_u32 v26, v4, 21, 1
	v_add_u32_e32 v26, -1, v26
	v_cmp_eq_u64_e32 vcc, v[32:33], v[36:37]
	v_cndmask_b32_e32 v26, 0, v26, vcc
	v_add_u32_e32 v26, v26, v4
	v_and_b32_e32 v26, 0x1fffff, v26
	v_add_co_u32_e32 v4, vcc, v26, v4
	v_add_u32_e32 v27, 14, v31
	v_addc_co_u32_e32 v5, vcc, 0, v5, vcc
	v_cmp_ne_u32_e32 vcc, 0, v27
                                        ; implicit-def: $vgpr26
	s_and_saveexec_b64 s[18:19], vcc
	s_xor_b64 s[18:19], exec, s[18:19]
; %bb.123:                              ;   in Loop: Header=BB0_67 Depth=2
	v_add_u32_e32 v26, 15, v31
	v_cmp_lt_u64_e32 vcc, s[42:43], v[4:5]
	v_cndmask_b32_e32 v26, v27, v26, vcc
	v_cndmask_b32_e64 v27, 0, 1, vcc
	v_lshrrev_b64 v[4:5], v27, v[4:5]
; %bb.124:                              ;   in Loop: Header=BB0_67 Depth=2
	s_andn2_saveexec_b64 s[18:19], s[18:19]
; %bb.125:                              ;   in Loop: Header=BB0_67 Depth=2
	v_bfe_u32 v26, v4, 23, 1
; %bb.126:                              ;   in Loop: Header=BB0_67 Depth=2
	s_or_b64 exec, exec, s[18:19]
	v_lshrrev_b64 v[4:5], 21, v[4:5]
	v_cmp_gt_i32_e32 vcc, 32, v26
	v_cndmask_b32_e32 v5, 0, v5, vcc
	v_cndmask_b32_e32 v4, 3, v4, vcc
	v_cmp_eq_u64_e64 s[18:19], 0, v[4:5]
	v_min_i32_e32 v5, 31, v26
	v_cmp_eq_u32_e32 vcc, 0, v26
	v_lshlrev_b32_e32 v5, 2, v5
	v_and_or_b32 v4, v4, 3, v5
	s_and_b64 s[18:19], vcc, s[18:19]
	v_cndmask_b32_e64 v4, v4, 0, s[18:19]
	v_or_b32_e32 v26, v4, v2
.LBB0_127:                              ;   in Loop: Header=BB0_67 Depth=2
	s_or_b64 exec, exec, s[52:53]
.LBB0_128:                              ;   in Loop: Header=BB0_67 Depth=2
	s_or_b64 exec, exec, s[50:51]
                                        ; implicit-def: $vgpr27
                                        ; implicit-def: $vgpr4_vgpr5
.LBB0_129:                              ;   in Loop: Header=BB0_67 Depth=2
	s_andn2_saveexec_b64 s[18:19], s[48:49]
; %bb.130:                              ;   in Loop: Header=BB0_67 Depth=2
	v_or_b32_sdwa v2, v27, s68 dst_sel:DWORD dst_unused:UNUSED_PAD src0_sel:BYTE_3 src1_sel:DWORD
	v_cmp_eq_u64_e32 vcc, 0, v[4:5]
	v_cndmask_b32_e32 v26, v2, v26, vcc
; %bb.131:                              ;   in Loop: Header=BB0_67 Depth=2
	s_or_b64 exec, exec, s[18:19]
	v_cmp_lt_u32_e32 vcc, s37, v54
	v_mov_b32_e32 v4, 0
	s_and_saveexec_b64 s[18:19], vcc
	s_cbranch_execz .LBB0_139
; %bb.132:                              ;   in Loop: Header=BB0_67 Depth=2
	v_lshrrev_b32_e32 v2, 24, v54
	v_cmp_ne_u32_e32 vcc, s66, v2
	v_bfrev_b32_e32 v4, 1
	s_and_saveexec_b64 s[48:49], vcc
	s_cbranch_execz .LBB0_138
; %bb.133:                              ;   in Loop: Header=BB0_67 Depth=2
	v_and_b32_e32 v4, 0x7c000000, v54
	v_bfe_u32 v5, v54, 24, 2
	v_cmp_ne_u32_e32 vcc, s70, v4
                                        ; implicit-def: $vgpr4
	s_and_saveexec_b64 s[50:51], vcc
	s_xor_b64 s[50:51], exec, s[50:51]
	s_cbranch_execz .LBB0_135
; %bb.134:                              ;   in Loop: Header=BB0_67 Depth=2
	v_ffbh_u32_e32 v27, v5
	v_min_u32_e32 v27, 32, v27
	v_bfe_u32 v4, v54, 26, 5
	v_subrev_u32_e32 v31, 29, v27
	v_lshlrev_b64 v[32:33], v31, v[2:3]
	v_sub_u32_e32 v2, 30, v27
	v_cmp_eq_u32_e32 vcc, 0, v4
	v_cndmask_b32_e32 v2, v4, v2, vcc
	v_and_b32_e32 v27, 3, v32
	v_lshl_add_u32 v2, v2, 23, v7
	v_cndmask_b32_e32 v4, v5, v27, vcc
	v_and_or_b32 v2, v54, s65, v2
	v_lshl_or_b32 v4, v4, 21, v2
                                        ; implicit-def: $vgpr5
.LBB0_135:                              ;   in Loop: Header=BB0_67 Depth=2
	s_andn2_saveexec_b64 s[50:51], s[50:51]
; %bb.136:                              ;   in Loop: Header=BB0_67 Depth=2
	v_cmp_lt_i32_e32 vcc, -1, v54
	v_cndmask_b32_e32 v2, v24, v25, vcc
	v_cmp_eq_u32_e32 vcc, 0, v5
	v_cndmask_b32_e32 v4, v6, v2, vcc
; %bb.137:                              ;   in Loop: Header=BB0_67 Depth=2
	s_or_b64 exec, exec, s[50:51]
.LBB0_138:                              ;   in Loop: Header=BB0_67 Depth=2
	s_or_b64 exec, exec, s[48:49]
.LBB0_139:                              ;   in Loop: Header=BB0_67 Depth=2
	s_or_b64 exec, exec, s[18:19]
	v_mul_f32_e32 v4, v62, v4
	v_and_b32_sdwa v2, v4, s66 dst_sel:DWORD dst_unused:UNUSED_PAD src0_sel:BYTE_3 src1_sel:DWORD
	v_and_b32_e32 v32, 0x7f800000, v4
	v_mov_b32_e32 v33, v55
	v_and_b32_e32 v54, 0x7fffff, v4
	v_or_b32_e32 v27, 0x7b, v2
	v_cmp_ne_u64_e32 vcc, s[38:39], v[32:33]
	s_and_saveexec_b64 s[18:19], vcc
	s_xor_b64 s[48:49], exec, s[18:19]
	s_cbranch_execz .LBB0_149
; %bb.140:                              ;   in Loop: Header=BB0_67 Depth=2
	v_and_b32_e32 v32, 0x7fffffff, v4
	v_mov_b32_e32 v33, v55
	v_cmp_gt_u64_e32 vcc, s[40:41], v[32:33]
	s_and_saveexec_b64 s[50:51], vcc
	s_cbranch_execz .LBB0_148
; %bb.141:                              ;   in Loop: Header=BB0_67 Depth=2
	v_cmp_ne_u32_e32 vcc, 0, v4
	v_mov_b32_e32 v27, 0
	s_and_saveexec_b64 s[52:53], vcc
	s_cbranch_execz .LBB0_147
; %bb.142:                              ;   in Loop: Header=BB0_67 Depth=2
	v_bfe_u32 v4, v4, 23, 8
	v_sub_u32_e32 v27, 0x71, v4
	v_cmp_gt_u32_e32 vcc, s67, v4
	v_cndmask_b32_e32 v27, 0, v27, vcc
	v_cmp_eq_u32_e32 vcc, 0, v4
	v_or_b32_e32 v31, 0x800000, v54
	v_cndmask_b32_e32 v27, v27, v49, vcc
	v_add_u32_e32 v5, 0xffffff81, v4
	v_cndmask_b32_e32 v54, v31, v54, vcc
	v_add_u32_e32 v4, 21, v27
	v_cndmask_b32_e32 v32, v5, v48, vcc
	v_lshlrev_b64 v[4:5], v4, -1
	v_add_u32_e32 v31, 20, v27
	v_lshrrev_b64 v[40:41], v27, v[54:55]
	v_not_b32_e32 v5, v5
	v_not_b32_e32 v4, v4
	v_lshlrev_b64 v[36:37], v31, 1
	v_lshrrev_b32_e32 v31, 23, v40
	v_and_b32_e32 v5, 0, v5
	v_and_b32_e32 v4, v54, v4
	v_add3_u32 v32, v27, v32, v31
	v_bfe_u32 v27, v40, 21, 1
	v_add_u32_e32 v27, -1, v27
	v_cmp_eq_u64_e32 vcc, v[4:5], v[36:37]
	v_cndmask_b32_e32 v4, 0, v27, vcc
	v_add_u32_e32 v4, v4, v40
	v_and_b32_e32 v4, 0x1fffff, v4
	v_add_co_u32_e32 v4, vcc, v4, v40
	v_add_u32_e32 v31, 14, v32
	v_addc_co_u32_e32 v5, vcc, 0, v41, vcc
	v_cmp_ne_u32_e32 vcc, 0, v31
                                        ; implicit-def: $vgpr27
	s_and_saveexec_b64 s[18:19], vcc
	s_xor_b64 s[18:19], exec, s[18:19]
; %bb.143:                              ;   in Loop: Header=BB0_67 Depth=2
	v_add_u32_e32 v27, 15, v32
	v_cmp_lt_u64_e32 vcc, s[42:43], v[4:5]
	v_cndmask_b32_e32 v27, v31, v27, vcc
	v_cndmask_b32_e64 v31, 0, 1, vcc
	v_lshrrev_b64 v[4:5], v31, v[4:5]
; %bb.144:                              ;   in Loop: Header=BB0_67 Depth=2
	s_andn2_saveexec_b64 s[18:19], s[18:19]
; %bb.145:                              ;   in Loop: Header=BB0_67 Depth=2
	v_bfe_u32 v27, v4, 23, 1
; %bb.146:                              ;   in Loop: Header=BB0_67 Depth=2
	s_or_b64 exec, exec, s[18:19]
	v_lshrrev_b64 v[4:5], 21, v[4:5]
	v_cmp_gt_i32_e32 vcc, 32, v27
	v_cndmask_b32_e32 v5, 0, v5, vcc
	v_cndmask_b32_e32 v4, 3, v4, vcc
	v_cmp_eq_u64_e64 s[18:19], 0, v[4:5]
	v_min_i32_e32 v5, 31, v27
	v_cmp_eq_u32_e32 vcc, 0, v27
	v_lshlrev_b32_e32 v5, 2, v5
	v_and_or_b32 v4, v4, 3, v5
	s_and_b64 s[18:19], vcc, s[18:19]
	v_cndmask_b32_e64 v4, v4, 0, s[18:19]
	v_or_b32_e32 v27, v4, v2
.LBB0_147:                              ;   in Loop: Header=BB0_67 Depth=2
	s_or_b64 exec, exec, s[52:53]
.LBB0_148:                              ;   in Loop: Header=BB0_67 Depth=2
	s_or_b64 exec, exec, s[50:51]
                                        ; implicit-def: $vgpr4
.LBB0_149:                              ;   in Loop: Header=BB0_67 Depth=2
	s_andn2_saveexec_b64 s[18:19], s[48:49]
; %bb.150:                              ;   in Loop: Header=BB0_67 Depth=2
	v_or_b32_sdwa v2, v4, s68 dst_sel:DWORD dst_unused:UNUSED_PAD src0_sel:BYTE_3 src1_sel:DWORD
	v_cmp_eq_u64_e32 vcc, 0, v[54:55]
	v_cndmask_b32_e32 v27, v2, v27, vcc
; %bb.151:                              ;   in Loop: Header=BB0_67 Depth=2
	s_or_b64 exec, exec, s[18:19]
	v_alignbit_b32 v54, v29, v28, v9
	v_cmp_ne_u16_sdwa vcc, v54, v55 src0_sel:BYTE_0 src1_sel:DWORD
	v_mov_b32_e32 v2, 0
	s_and_saveexec_b64 s[18:19], vcc
	s_cbranch_execz .LBB0_159
; %bb.152:                              ;   in Loop: Header=BB0_67 Depth=2
	v_cmp_ne_u16_sdwa vcc, sext(v54), s63 src0_sel:BYTE_0 src1_sel:DWORD
	v_bfrev_b32_e32 v2, 1
	s_and_saveexec_b64 s[48:49], vcc
	s_cbranch_execz .LBB0_158
; %bb.153:                              ;   in Loop: Header=BB0_67 Depth=2
	v_and_b32_e32 v2, 0x7c, v54
	v_and_b32_e32 v4, 3, v54
	v_cmp_ne_u32_e32 vcc, s64, v2
                                        ; implicit-def: $vgpr2
	s_and_saveexec_b64 s[50:51], vcc
	s_xor_b64 s[50:51], exec, s[50:51]
	s_cbranch_execz .LBB0_155
; %bb.154:                              ;   in Loop: Header=BB0_67 Depth=2
	v_ffbh_u32_e32 v5, v4
	v_bfe_u32 v2, v54, 2, 5
	v_min_u32_e32 v5, 32, v5
	v_subrev_u32_e32 v28, 29, v5
	v_sub_u32_e32 v5, 30, v5
	v_cmp_eq_u32_e32 vcc, 0, v2
	v_lshlrev_b64 v[28:29], v28, v[54:55]
	v_cndmask_b32_e32 v2, v2, v5, vcc
	v_and_b32_e32 v28, 3, v28
	v_lshlrev_b32_e32 v5, 24, v54
	v_lshl_add_u32 v2, v2, 23, v7
	v_cndmask_b32_e32 v4, v4, v28, vcc
	v_and_or_b32 v2, v5, s65, v2
	v_lshl_or_b32 v2, v4, 21, v2
                                        ; implicit-def: $vgpr4
.LBB0_155:                              ;   in Loop: Header=BB0_67 Depth=2
	s_andn2_saveexec_b64 s[50:51], s[50:51]
; %bb.156:                              ;   in Loop: Header=BB0_67 Depth=2
	v_cmp_gt_i16_sdwa vcc, sext(v54), v47 src0_sel:BYTE_0 src1_sel:DWORD
	v_cndmask_b32_e32 v2, v24, v25, vcc
	v_cmp_eq_u32_e32 vcc, 0, v4
	v_cndmask_b32_e32 v2, v6, v2, vcc
; %bb.157:                              ;   in Loop: Header=BB0_67 Depth=2
	s_or_b64 exec, exec, s[50:51]
.LBB0_158:                              ;   in Loop: Header=BB0_67 Depth=2
	s_or_b64 exec, exec, s[48:49]
.LBB0_159:                              ;   in Loop: Header=BB0_67 Depth=2
	s_or_b64 exec, exec, s[18:19]
	v_mul_f32_e32 v29, v62, v2
	v_and_b32_sdwa v2, v29, s66 dst_sel:DWORD dst_unused:UNUSED_PAD src0_sel:BYTE_3 src1_sel:DWORD
	v_and_b32_e32 v32, 0x7f800000, v29
	v_mov_b32_e32 v33, v55
	v_and_b32_e32 v4, 0x7fffff, v29
	v_mov_b32_e32 v5, v55
	v_or_b32_e32 v28, 0x7b, v2
	v_cmp_ne_u64_e32 vcc, s[38:39], v[32:33]
	s_and_saveexec_b64 s[18:19], vcc
	s_xor_b64 s[48:49], exec, s[18:19]
	s_cbranch_execz .LBB0_169
; %bb.160:                              ;   in Loop: Header=BB0_67 Depth=2
	v_and_b32_e32 v32, 0x7fffffff, v29
	v_mov_b32_e32 v33, v55
	v_cmp_gt_u64_e32 vcc, s[40:41], v[32:33]
	s_and_saveexec_b64 s[50:51], vcc
	s_cbranch_execz .LBB0_168
; %bb.161:                              ;   in Loop: Header=BB0_67 Depth=2
	v_cmp_ne_u32_e32 vcc, 0, v29
	v_mov_b32_e32 v28, 0
	s_and_saveexec_b64 s[52:53], vcc
	s_cbranch_execz .LBB0_167
; %bb.162:                              ;   in Loop: Header=BB0_67 Depth=2
	v_bfe_u32 v28, v29, 23, 8
	v_sub_u32_e32 v31, 0x71, v28
	v_cmp_gt_u32_e32 vcc, s67, v28
	v_cndmask_b32_e32 v31, 0, v31, vcc
	v_cmp_eq_u32_e32 vcc, 0, v28
	v_cndmask_b32_e32 v31, v31, v49, vcc
	v_add_u32_e32 v29, 0xffffff81, v28
	v_add_u32_e32 v28, 21, v31
	v_or_b32_e32 v32, 0x800000, v4
	v_cndmask_b32_e32 v38, v29, v48, vcc
	v_lshlrev_b64 v[28:29], v28, -1
	v_cndmask_b32_e32 v4, v32, v4, vcc
	v_not_b32_e32 v28, v28
	v_and_b32_e32 v32, v4, v28
	v_add_u32_e32 v28, 20, v31
	v_lshrrev_b64 v[4:5], v31, v[4:5]
	v_not_b32_e32 v29, v29
	v_lshlrev_b64 v[36:37], v28, 1
	v_lshrrev_b32_e32 v28, 23, v4
	v_and_b32_e32 v33, 0, v29
	v_add3_u32 v31, v31, v38, v28
	v_bfe_u32 v28, v4, 21, 1
	v_add_u32_e32 v28, -1, v28
	v_cmp_eq_u64_e32 vcc, v[32:33], v[36:37]
	v_cndmask_b32_e32 v28, 0, v28, vcc
	v_add_u32_e32 v28, v28, v4
	v_and_b32_e32 v28, 0x1fffff, v28
	v_add_co_u32_e32 v4, vcc, v28, v4
	v_add_u32_e32 v29, 14, v31
	v_addc_co_u32_e32 v5, vcc, 0, v5, vcc
	v_cmp_ne_u32_e32 vcc, 0, v29
                                        ; implicit-def: $vgpr28
	s_and_saveexec_b64 s[18:19], vcc
	s_xor_b64 s[18:19], exec, s[18:19]
; %bb.163:                              ;   in Loop: Header=BB0_67 Depth=2
	v_add_u32_e32 v28, 15, v31
	v_cmp_lt_u64_e32 vcc, s[42:43], v[4:5]
	v_cndmask_b32_e32 v28, v29, v28, vcc
	v_cndmask_b32_e64 v29, 0, 1, vcc
	v_lshrrev_b64 v[4:5], v29, v[4:5]
; %bb.164:                              ;   in Loop: Header=BB0_67 Depth=2
	s_andn2_saveexec_b64 s[18:19], s[18:19]
; %bb.165:                              ;   in Loop: Header=BB0_67 Depth=2
	v_bfe_u32 v28, v4, 23, 1
; %bb.166:                              ;   in Loop: Header=BB0_67 Depth=2
	s_or_b64 exec, exec, s[18:19]
	v_lshrrev_b64 v[4:5], 21, v[4:5]
	v_cmp_gt_i32_e32 vcc, 32, v28
	v_cndmask_b32_e32 v5, 0, v5, vcc
	v_cndmask_b32_e32 v4, 3, v4, vcc
	v_cmp_eq_u64_e64 s[18:19], 0, v[4:5]
	v_min_i32_e32 v5, 31, v28
	v_cmp_eq_u32_e32 vcc, 0, v28
	v_lshlrev_b32_e32 v5, 2, v5
	v_and_or_b32 v4, v4, 3, v5
	s_and_b64 s[18:19], vcc, s[18:19]
	v_cndmask_b32_e64 v4, v4, 0, s[18:19]
	v_or_b32_e32 v28, v4, v2
.LBB0_167:                              ;   in Loop: Header=BB0_67 Depth=2
	s_or_b64 exec, exec, s[52:53]
.LBB0_168:                              ;   in Loop: Header=BB0_67 Depth=2
	s_or_b64 exec, exec, s[50:51]
                                        ; implicit-def: $vgpr29
                                        ; implicit-def: $vgpr4_vgpr5
.LBB0_169:                              ;   in Loop: Header=BB0_67 Depth=2
	s_andn2_saveexec_b64 s[18:19], s[48:49]
; %bb.170:                              ;   in Loop: Header=BB0_67 Depth=2
	v_or_b32_sdwa v2, v29, s68 dst_sel:DWORD dst_unused:UNUSED_PAD src0_sel:BYTE_3 src1_sel:DWORD
	v_cmp_eq_u64_e32 vcc, 0, v[4:5]
	v_cndmask_b32_e32 v28, v2, v28, vcc
; %bb.171:                              ;   in Loop: Header=BB0_67 Depth=2
	s_or_b64 exec, exec, s[18:19]
	v_lshrrev_b16_e32 v4, 8, v54
	v_cmp_ne_u16_e32 vcc, 0, v4
	v_mov_b32_e32 v2, 0
	s_and_saveexec_b64 s[18:19], vcc
	s_cbranch_execz .LBB0_179
; %bb.172:                              ;   in Loop: Header=BB0_67 Depth=2
	v_cmp_ne_u16_e32 vcc, s66, v4
	v_bfrev_b32_e32 v2, 1
	s_and_saveexec_b64 s[48:49], vcc
	s_cbranch_execz .LBB0_178
; %bb.173:                              ;   in Loop: Header=BB0_67 Depth=2
	v_and_b32_e32 v2, 0x7c, v4
	v_and_b32_e32 v29, 3, v4
	v_cmp_ne_u32_e32 vcc, s64, v2
                                        ; implicit-def: $vgpr2
	s_and_saveexec_b64 s[50:51], vcc
	s_xor_b64 s[50:51], exec, s[50:51]
	s_cbranch_execz .LBB0_175
; %bb.174:                              ;   in Loop: Header=BB0_67 Depth=2
	v_ffbh_u32_e32 v31, v29
	v_min_u32_e32 v31, 32, v31
	v_mov_b32_e32 v5, v55
	v_subrev_u32_e32 v32, 29, v31
	v_bfe_u32 v2, v4, 2, 5
	v_lshlrev_b64 v[4:5], v32, v[4:5]
	v_sub_u32_e32 v5, 30, v31
	v_cmp_eq_u32_e32 vcc, 0, v2
	v_cndmask_b32_e32 v2, v2, v5, vcc
	v_and_b32_e32 v4, 3, v4
	v_lshlrev_b32_e32 v5, 16, v54
	v_lshl_add_u32 v2, v2, 23, v7
	v_cndmask_b32_e32 v4, v29, v4, vcc
	v_and_or_b32 v2, v5, s65, v2
	v_lshl_or_b32 v2, v4, 21, v2
                                        ; implicit-def: $vgpr29
.LBB0_175:                              ;   in Loop: Header=BB0_67 Depth=2
	s_andn2_saveexec_b64 s[50:51], s[50:51]
; %bb.176:                              ;   in Loop: Header=BB0_67 Depth=2
	v_cmp_lt_i16_e32 vcc, -1, v54
	v_cndmask_b32_e32 v2, v24, v25, vcc
	v_cmp_eq_u32_e32 vcc, 0, v29
	v_cndmask_b32_e32 v2, v6, v2, vcc
; %bb.177:                              ;   in Loop: Header=BB0_67 Depth=2
	s_or_b64 exec, exec, s[50:51]
.LBB0_178:                              ;   in Loop: Header=BB0_67 Depth=2
	s_or_b64 exec, exec, s[48:49]
.LBB0_179:                              ;   in Loop: Header=BB0_67 Depth=2
	s_or_b64 exec, exec, s[18:19]
	v_mul_f32_e32 v31, v62, v2
	v_and_b32_sdwa v2, v31, s66 dst_sel:DWORD dst_unused:UNUSED_PAD src0_sel:BYTE_3 src1_sel:DWORD
	v_and_b32_e32 v32, 0x7f800000, v31
	v_mov_b32_e32 v33, v55
	v_and_b32_e32 v4, 0x7fffff, v31
	v_mov_b32_e32 v5, v55
	v_or_b32_e32 v29, 0x7b, v2
	v_cmp_ne_u64_e32 vcc, s[38:39], v[32:33]
	s_and_saveexec_b64 s[18:19], vcc
	s_xor_b64 s[48:49], exec, s[18:19]
	s_cbranch_execz .LBB0_189
; %bb.180:                              ;   in Loop: Header=BB0_67 Depth=2
	v_and_b32_e32 v32, 0x7fffffff, v31
	v_mov_b32_e32 v33, v55
	v_cmp_gt_u64_e32 vcc, s[40:41], v[32:33]
	s_and_saveexec_b64 s[50:51], vcc
	s_cbranch_execz .LBB0_188
; %bb.181:                              ;   in Loop: Header=BB0_67 Depth=2
	v_cmp_ne_u32_e32 vcc, 0, v31
	v_mov_b32_e32 v29, 0
	s_and_saveexec_b64 s[52:53], vcc
	s_cbranch_execz .LBB0_187
; %bb.182:                              ;   in Loop: Header=BB0_67 Depth=2
	v_bfe_u32 v29, v31, 23, 8
	v_sub_u32_e32 v32, 0x71, v29
	v_cmp_gt_u32_e32 vcc, s67, v29
	v_add_u32_e32 v31, 0xffffff81, v29
	v_cndmask_b32_e32 v32, 0, v32, vcc
	v_cmp_eq_u32_e32 vcc, 0, v29
	v_cndmask_b32_e32 v29, v31, v48, vcc
	v_cndmask_b32_e32 v31, v32, v49, vcc
	v_or_b32_e32 v33, 0x800000, v4
	v_add_u32_e32 v32, 21, v31
	v_cndmask_b32_e32 v4, v33, v4, vcc
	v_lshlrev_b64 v[32:33], v32, -1
	v_not_b32_e32 v32, v32
	v_and_b32_e32 v36, v4, v32
	v_add_u32_e32 v32, 20, v31
	v_lshrrev_b64 v[4:5], v31, v[4:5]
	v_not_b32_e32 v33, v33
	v_lshlrev_b64 v[40:41], v32, 1
	v_lshrrev_b32_e32 v32, 23, v4
	v_and_b32_e32 v37, 0, v33
	v_add3_u32 v32, v31, v29, v32
	v_bfe_u32 v29, v4, 21, 1
	v_add_u32_e32 v29, -1, v29
	v_cmp_eq_u64_e32 vcc, v[36:37], v[40:41]
	v_cndmask_b32_e32 v29, 0, v29, vcc
	v_add_u32_e32 v29, v29, v4
	v_and_b32_e32 v29, 0x1fffff, v29
	v_add_co_u32_e32 v4, vcc, v29, v4
	v_add_u32_e32 v31, 14, v32
	v_addc_co_u32_e32 v5, vcc, 0, v5, vcc
	v_cmp_ne_u32_e32 vcc, 0, v31
                                        ; implicit-def: $vgpr29
	s_and_saveexec_b64 s[18:19], vcc
	s_xor_b64 s[18:19], exec, s[18:19]
; %bb.183:                              ;   in Loop: Header=BB0_67 Depth=2
	v_add_u32_e32 v29, 15, v32
	v_cmp_lt_u64_e32 vcc, s[42:43], v[4:5]
	v_cndmask_b32_e32 v29, v31, v29, vcc
	v_cndmask_b32_e64 v31, 0, 1, vcc
	v_lshrrev_b64 v[4:5], v31, v[4:5]
; %bb.184:                              ;   in Loop: Header=BB0_67 Depth=2
	s_andn2_saveexec_b64 s[18:19], s[18:19]
; %bb.185:                              ;   in Loop: Header=BB0_67 Depth=2
	v_bfe_u32 v29, v4, 23, 1
; %bb.186:                              ;   in Loop: Header=BB0_67 Depth=2
	s_or_b64 exec, exec, s[18:19]
	v_lshrrev_b64 v[4:5], 21, v[4:5]
	v_cmp_gt_i32_e32 vcc, 32, v29
	v_cndmask_b32_e32 v5, 0, v5, vcc
	v_cndmask_b32_e32 v4, 3, v4, vcc
	v_cmp_eq_u64_e64 s[18:19], 0, v[4:5]
	v_min_i32_e32 v5, 31, v29
	v_cmp_eq_u32_e32 vcc, 0, v29
	v_lshlrev_b32_e32 v5, 2, v5
	v_and_or_b32 v4, v4, 3, v5
	s_and_b64 s[18:19], vcc, s[18:19]
	v_cndmask_b32_e64 v4, v4, 0, s[18:19]
	v_or_b32_e32 v29, v4, v2
.LBB0_187:                              ;   in Loop: Header=BB0_67 Depth=2
	s_or_b64 exec, exec, s[52:53]
.LBB0_188:                              ;   in Loop: Header=BB0_67 Depth=2
	s_or_b64 exec, exec, s[50:51]
                                        ; implicit-def: $vgpr31
                                        ; implicit-def: $vgpr4_vgpr5
.LBB0_189:                              ;   in Loop: Header=BB0_67 Depth=2
	s_andn2_saveexec_b64 s[18:19], s[48:49]
; %bb.190:                              ;   in Loop: Header=BB0_67 Depth=2
	v_or_b32_sdwa v2, v31, s68 dst_sel:DWORD dst_unused:UNUSED_PAD src0_sel:BYTE_3 src1_sel:DWORD
	v_cmp_eq_u64_e32 vcc, 0, v[4:5]
	v_cndmask_b32_e32 v29, v2, v29, vcc
; %bb.191:                              ;   in Loop: Header=BB0_67 Depth=2
	s_or_b64 exec, exec, s[18:19]
	v_and_b32_sdwa v5, v54, s62 dst_sel:DWORD dst_unused:UNUSED_PAD src0_sel:WORD_1 src1_sel:DWORD
	v_lshrrev_b32_e32 v2, 16, v54
	v_cmp_ne_u16_e32 vcc, 0, v5
	v_mov_b32_e32 v4, 0
	s_and_saveexec_b64 s[18:19], vcc
	s_cbranch_execz .LBB0_199
; %bb.192:                              ;   in Loop: Header=BB0_67 Depth=2
	v_cmp_ne_u16_e32 vcc, s66, v5
	v_bfrev_b32_e32 v4, 1
	s_and_saveexec_b64 s[48:49], vcc
	s_cbranch_execz .LBB0_198
; %bb.193:                              ;   in Loop: Header=BB0_67 Depth=2
	v_and_b32_e32 v4, 0x7c0000, v54
	v_bfe_u32 v5, v54, 16, 2
	v_cmp_ne_u32_e32 vcc, s69, v4
                                        ; implicit-def: $vgpr4
	s_and_saveexec_b64 s[50:51], vcc
	s_xor_b64 s[50:51], exec, s[50:51]
	s_cbranch_execz .LBB0_195
; %bb.194:                              ;   in Loop: Header=BB0_67 Depth=2
	v_ffbh_u32_e32 v31, v5
	v_min_u32_e32 v31, 32, v31
	v_bfe_u32 v4, v54, 18, 5
	v_subrev_u32_e32 v32, 29, v31
	v_lshlrev_b64 v[32:33], v32, v[2:3]
	v_sub_u32_e32 v2, 30, v31
	v_cmp_eq_u32_e32 vcc, 0, v4
	v_and_b32_e32 v31, 3, v32
	v_cndmask_b32_e32 v2, v4, v2, vcc
	v_cndmask_b32_e32 v4, v5, v31, vcc
	v_lshlrev_b32_e32 v5, 8, v54
	v_lshl_add_u32 v2, v2, 23, v7
	v_and_or_b32 v2, v5, s65, v2
	v_lshl_or_b32 v4, v4, 21, v2
                                        ; implicit-def: $vgpr5
                                        ; implicit-def: $vgpr2
.LBB0_195:                              ;   in Loop: Header=BB0_67 Depth=2
	s_andn2_saveexec_b64 s[50:51], s[50:51]
; %bb.196:                              ;   in Loop: Header=BB0_67 Depth=2
	v_cmp_gt_i16_sdwa vcc, sext(v2), v47 src0_sel:BYTE_0 src1_sel:DWORD
	v_cndmask_b32_e32 v2, v24, v25, vcc
	v_cmp_eq_u32_e32 vcc, 0, v5
	v_cndmask_b32_e32 v4, v6, v2, vcc
; %bb.197:                              ;   in Loop: Header=BB0_67 Depth=2
	s_or_b64 exec, exec, s[50:51]
.LBB0_198:                              ;   in Loop: Header=BB0_67 Depth=2
	s_or_b64 exec, exec, s[48:49]
.LBB0_199:                              ;   in Loop: Header=BB0_67 Depth=2
	s_or_b64 exec, exec, s[18:19]
	v_mul_f32_e32 v32, v62, v4
	v_and_b32_sdwa v2, v32, s66 dst_sel:DWORD dst_unused:UNUSED_PAD src0_sel:BYTE_3 src1_sel:DWORD
	v_and_b32_e32 v36, 0x7f800000, v32
	v_mov_b32_e32 v37, v55
	v_and_b32_e32 v4, 0x7fffff, v32
	v_mov_b32_e32 v5, v55
	v_or_b32_e32 v31, 0x7b, v2
	v_cmp_ne_u64_e32 vcc, s[38:39], v[36:37]
	s_and_saveexec_b64 s[18:19], vcc
	s_xor_b64 s[48:49], exec, s[18:19]
	s_cbranch_execz .LBB0_209
; %bb.200:                              ;   in Loop: Header=BB0_67 Depth=2
	v_and_b32_e32 v36, 0x7fffffff, v32
	v_mov_b32_e32 v37, v55
	v_cmp_gt_u64_e32 vcc, s[40:41], v[36:37]
	s_and_saveexec_b64 s[50:51], vcc
	s_cbranch_execz .LBB0_208
; %bb.201:                              ;   in Loop: Header=BB0_67 Depth=2
	v_cmp_ne_u32_e32 vcc, 0, v32
	v_mov_b32_e32 v31, 0
	s_and_saveexec_b64 s[52:53], vcc
	s_cbranch_execz .LBB0_207
; %bb.202:                              ;   in Loop: Header=BB0_67 Depth=2
	v_bfe_u32 v31, v32, 23, 8
	v_sub_u32_e32 v33, 0x71, v31
	v_cmp_gt_u32_e32 vcc, s67, v31
	v_cndmask_b32_e32 v33, 0, v33, vcc
	v_cmp_eq_u32_e32 vcc, 0, v31
	v_add_u32_e32 v32, 0xffffff81, v31
	v_cndmask_b32_e32 v38, v33, v49, vcc
	v_cndmask_b32_e32 v31, v32, v48, vcc
	v_add_u32_e32 v32, 21, v38
	v_or_b32_e32 v36, 0x800000, v4
	v_lshlrev_b64 v[32:33], v32, -1
	v_cndmask_b32_e32 v4, v36, v4, vcc
	v_not_b32_e32 v32, v32
	v_and_b32_e32 v36, v4, v32
	v_add_u32_e32 v32, 20, v38
	v_lshrrev_b64 v[4:5], v38, v[4:5]
	v_not_b32_e32 v33, v33
	v_lshlrev_b64 v[40:41], v32, 1
	v_lshrrev_b32_e32 v32, 23, v4
	v_and_b32_e32 v37, 0, v33
	v_add3_u32 v33, v38, v31, v32
	v_bfe_u32 v31, v4, 21, 1
	v_add_u32_e32 v31, -1, v31
	v_cmp_eq_u64_e32 vcc, v[36:37], v[40:41]
	v_cndmask_b32_e32 v31, 0, v31, vcc
	v_add_u32_e32 v31, v31, v4
	v_and_b32_e32 v31, 0x1fffff, v31
	v_add_co_u32_e32 v4, vcc, v31, v4
	v_add_u32_e32 v32, 14, v33
	v_addc_co_u32_e32 v5, vcc, 0, v5, vcc
	v_cmp_ne_u32_e32 vcc, 0, v32
                                        ; implicit-def: $vgpr31
	s_and_saveexec_b64 s[18:19], vcc
	s_xor_b64 s[18:19], exec, s[18:19]
; %bb.203:                              ;   in Loop: Header=BB0_67 Depth=2
	v_add_u32_e32 v31, 15, v33
	v_cmp_lt_u64_e32 vcc, s[42:43], v[4:5]
	v_cndmask_b32_e32 v31, v32, v31, vcc
	v_cndmask_b32_e64 v32, 0, 1, vcc
	v_lshrrev_b64 v[4:5], v32, v[4:5]
; %bb.204:                              ;   in Loop: Header=BB0_67 Depth=2
	s_andn2_saveexec_b64 s[18:19], s[18:19]
; %bb.205:                              ;   in Loop: Header=BB0_67 Depth=2
	v_bfe_u32 v31, v4, 23, 1
; %bb.206:                              ;   in Loop: Header=BB0_67 Depth=2
	s_or_b64 exec, exec, s[18:19]
	v_lshrrev_b64 v[4:5], 21, v[4:5]
	v_cmp_gt_i32_e32 vcc, 32, v31
	v_cndmask_b32_e32 v5, 0, v5, vcc
	v_cndmask_b32_e32 v4, 3, v4, vcc
	v_cmp_eq_u64_e64 s[18:19], 0, v[4:5]
	v_min_i32_e32 v5, 31, v31
	v_lshlrev_b32_e32 v5, 2, v5
	v_cmp_eq_u32_e32 vcc, 0, v31
	v_and_b32_e32 v5, 0xfc, v5
	v_and_or_b32 v4, v4, 3, v5
	s_and_b64 s[18:19], vcc, s[18:19]
	v_cndmask_b32_e64 v4, v4, 0, s[18:19]
	v_or_b32_e32 v31, v4, v2
.LBB0_207:                              ;   in Loop: Header=BB0_67 Depth=2
	s_or_b64 exec, exec, s[52:53]
.LBB0_208:                              ;   in Loop: Header=BB0_67 Depth=2
	s_or_b64 exec, exec, s[50:51]
                                        ; implicit-def: $vgpr32
                                        ; implicit-def: $vgpr4_vgpr5
.LBB0_209:                              ;   in Loop: Header=BB0_67 Depth=2
	s_andn2_saveexec_b64 s[18:19], s[48:49]
; %bb.210:                              ;   in Loop: Header=BB0_67 Depth=2
	v_or_b32_sdwa v2, v32, s68 dst_sel:DWORD dst_unused:UNUSED_PAD src0_sel:BYTE_3 src1_sel:DWORD
	v_cmp_eq_u64_e32 vcc, 0, v[4:5]
	v_cndmask_b32_e32 v31, v2, v31, vcc
; %bb.211:                              ;   in Loop: Header=BB0_67 Depth=2
	s_or_b64 exec, exec, s[18:19]
	v_cmp_lt_u32_e32 vcc, s37, v54
	v_mov_b32_e32 v4, 0
	s_and_saveexec_b64 s[18:19], vcc
	s_cbranch_execz .LBB0_219
; %bb.212:                              ;   in Loop: Header=BB0_67 Depth=2
	v_lshrrev_b32_e32 v2, 24, v54
	v_cmp_ne_u32_e32 vcc, s66, v2
	v_bfrev_b32_e32 v4, 1
	s_and_saveexec_b64 s[48:49], vcc
	s_cbranch_execz .LBB0_218
; %bb.213:                              ;   in Loop: Header=BB0_67 Depth=2
	v_and_b32_e32 v4, 0x7c000000, v54
	v_bfe_u32 v5, v54, 24, 2
	v_cmp_ne_u32_e32 vcc, s70, v4
                                        ; implicit-def: $vgpr4
	s_and_saveexec_b64 s[50:51], vcc
	s_xor_b64 s[50:51], exec, s[50:51]
	s_cbranch_execz .LBB0_215
; %bb.214:                              ;   in Loop: Header=BB0_67 Depth=2
	v_ffbh_u32_e32 v32, v5
	v_min_u32_e32 v36, 32, v32
	v_bfe_u32 v4, v54, 26, 5
	v_subrev_u32_e32 v32, 29, v36
	v_lshlrev_b64 v[32:33], v32, v[2:3]
	v_sub_u32_e32 v2, 30, v36
	v_cmp_eq_u32_e32 vcc, 0, v4
	v_cndmask_b32_e32 v2, v4, v2, vcc
	v_and_b32_e32 v32, 3, v32
	v_lshl_add_u32 v2, v2, 23, v7
	v_cndmask_b32_e32 v4, v5, v32, vcc
	v_and_or_b32 v2, v54, s65, v2
	v_lshl_or_b32 v4, v4, 21, v2
                                        ; implicit-def: $vgpr5
.LBB0_215:                              ;   in Loop: Header=BB0_67 Depth=2
	s_andn2_saveexec_b64 s[50:51], s[50:51]
; %bb.216:                              ;   in Loop: Header=BB0_67 Depth=2
	v_cmp_lt_i32_e32 vcc, -1, v54
	v_cndmask_b32_e32 v2, v24, v25, vcc
	v_cmp_eq_u32_e32 vcc, 0, v5
	v_cndmask_b32_e32 v4, v6, v2, vcc
; %bb.217:                              ;   in Loop: Header=BB0_67 Depth=2
	s_or_b64 exec, exec, s[50:51]
.LBB0_218:                              ;   in Loop: Header=BB0_67 Depth=2
	s_or_b64 exec, exec, s[48:49]
.LBB0_219:                              ;   in Loop: Header=BB0_67 Depth=2
	s_or_b64 exec, exec, s[18:19]
	v_mul_f32_e32 v5, v62, v4
	v_and_b32_sdwa v2, v5, s66 dst_sel:DWORD dst_unused:UNUSED_PAD src0_sel:BYTE_3 src1_sel:DWORD
	v_and_b32_e32 v32, 0x7f800000, v5
	v_mov_b32_e32 v33, v55
	v_and_b32_e32 v54, 0x7fffff, v5
	v_or_b32_e32 v4, 0x7b, v2
	v_cmp_ne_u64_e32 vcc, s[38:39], v[32:33]
	s_and_saveexec_b64 s[18:19], vcc
	s_xor_b64 s[48:49], exec, s[18:19]
	s_cbranch_execz .LBB0_229
; %bb.220:                              ;   in Loop: Header=BB0_67 Depth=2
	v_and_b32_e32 v32, 0x7fffffff, v5
	v_mov_b32_e32 v33, v55
	v_cmp_gt_u64_e32 vcc, s[40:41], v[32:33]
	s_and_saveexec_b64 s[50:51], vcc
	s_cbranch_execz .LBB0_228
; %bb.221:                              ;   in Loop: Header=BB0_67 Depth=2
	v_cmp_ne_u32_e32 vcc, 0, v5
	v_mov_b32_e32 v4, 0
	s_and_saveexec_b64 s[52:53], vcc
	s_cbranch_execz .LBB0_227
; %bb.222:                              ;   in Loop: Header=BB0_67 Depth=2
	v_bfe_u32 v4, v5, 23, 8
	v_sub_u32_e32 v32, 0x71, v4
	v_cmp_gt_u32_e32 vcc, s67, v4
	v_cndmask_b32_e32 v32, 0, v32, vcc
	v_cmp_eq_u32_e32 vcc, 0, v4
	v_or_b32_e32 v33, 0x800000, v54
	v_cndmask_b32_e32 v32, v32, v49, vcc
	v_add_u32_e32 v5, 0xffffff81, v4
	v_cndmask_b32_e32 v54, v33, v54, vcc
	v_add_u32_e32 v4, 21, v32
	v_cndmask_b32_e32 v36, v5, v48, vcc
	v_lshlrev_b64 v[4:5], v4, -1
	v_add_u32_e32 v33, 20, v32
	v_lshrrev_b64 v[44:45], v32, v[54:55]
	v_not_b32_e32 v5, v5
	v_not_b32_e32 v4, v4
	v_lshlrev_b64 v[40:41], v33, 1
	v_lshrrev_b32_e32 v33, 23, v44
	v_and_b32_e32 v5, 0, v5
	v_and_b32_e32 v4, v54, v4
	v_add3_u32 v36, v32, v36, v33
	v_bfe_u32 v32, v44, 21, 1
	v_add_u32_e32 v32, -1, v32
	v_cmp_eq_u64_e32 vcc, v[4:5], v[40:41]
	v_cndmask_b32_e32 v4, 0, v32, vcc
	v_add_u32_e32 v4, v4, v44
	v_and_b32_e32 v4, 0x1fffff, v4
	v_add_co_u32_e32 v4, vcc, v4, v44
	v_add_u32_e32 v33, 14, v36
	v_addc_co_u32_e32 v5, vcc, 0, v45, vcc
	v_cmp_ne_u32_e32 vcc, 0, v33
                                        ; implicit-def: $vgpr32
	s_and_saveexec_b64 s[18:19], vcc
	s_xor_b64 s[18:19], exec, s[18:19]
; %bb.223:                              ;   in Loop: Header=BB0_67 Depth=2
	v_add_u32_e32 v32, 15, v36
	v_cmp_lt_u64_e32 vcc, s[42:43], v[4:5]
	v_cndmask_b32_e32 v32, v33, v32, vcc
	v_cndmask_b32_e64 v33, 0, 1, vcc
	v_lshrrev_b64 v[4:5], v33, v[4:5]
; %bb.224:                              ;   in Loop: Header=BB0_67 Depth=2
	s_andn2_saveexec_b64 s[18:19], s[18:19]
; %bb.225:                              ;   in Loop: Header=BB0_67 Depth=2
	v_bfe_u32 v32, v4, 23, 1
; %bb.226:                              ;   in Loop: Header=BB0_67 Depth=2
	s_or_b64 exec, exec, s[18:19]
	v_lshrrev_b64 v[4:5], 21, v[4:5]
	v_cmp_gt_i32_e32 vcc, 32, v32
	v_cndmask_b32_e32 v5, 0, v5, vcc
	v_cndmask_b32_e32 v4, 3, v4, vcc
	v_cmp_eq_u64_e64 s[18:19], 0, v[4:5]
	v_min_i32_e32 v5, 31, v32
	v_lshlrev_b32_e32 v5, 2, v5
	v_cmp_eq_u32_e32 vcc, 0, v32
	v_and_b32_e32 v5, 0xfc, v5
	v_and_or_b32 v4, v4, 3, v5
	s_and_b64 s[18:19], vcc, s[18:19]
	v_cndmask_b32_e64 v4, v4, 0, s[18:19]
	v_accvgpr_read_b32 v51, a11
	v_accvgpr_read_b32 v44, a48
	v_or_b32_e32 v4, v4, v2
	v_accvgpr_read_b32 v50, a10
	v_accvgpr_read_b32 v45, a49
.LBB0_227:                              ;   in Loop: Header=BB0_67 Depth=2
	s_or_b64 exec, exec, s[52:53]
.LBB0_228:                              ;   in Loop: Header=BB0_67 Depth=2
	s_or_b64 exec, exec, s[50:51]
                                        ; implicit-def: $vgpr5
.LBB0_229:                              ;   in Loop: Header=BB0_67 Depth=2
	s_andn2_saveexec_b64 s[18:19], s[48:49]
	s_cbranch_execz .LBB0_66
; %bb.230:                              ;   in Loop: Header=BB0_67 Depth=2
	v_or_b32_sdwa v2, v5, s68 dst_sel:DWORD dst_unused:UNUSED_PAD src0_sel:BYTE_3 src1_sel:DWORD
	v_cmp_eq_u64_e32 vcc, 0, v[54:55]
	v_cndmask_b32_e32 v4, v2, v4, vcc
	s_branch .LBB0_66
.LBB0_231:                              ;   in Loop: Header=BB0_29 Depth=1
	s_or_b64 exec, exec, s[46:47]
	v_accvgpr_read_b32 v8, a30
	v_accvgpr_read_b32 v9, a31
.LBB0_232:                              ;   in Loop: Header=BB0_29 Depth=1
	s_or_b64 exec, exec, s[44:45]
	v_and_b32_e32 v54, 0x7ffffff8, v16
	v_cmp_eq_u64_e32 vcc, s[34:35], v[54:55]
	v_cmp_gt_i32_e64 s[18:19], s60, v0
	s_and_b64 s[18:19], vcc, s[18:19]
	s_and_saveexec_b64 s[44:45], s[18:19]
	s_cbranch_execz .LBB0_235
; %bb.233:                              ;   in Loop: Header=BB0_29 Depth=1
	v_mul_lo_u32 v4, v1, s60
	v_mov_b32_e32 v1, v16
	s_waitcnt vmcnt(0) lgkmcnt(0)
	v_add_co_u32_e64 v2, vcc, 0, 0
	v_ashrrev_i32_e32 v5, 31, v4
	v_addc_co_u32_e32 v3, vcc, 1, v1, vcc
	v_ashrrev_i32_e32 v1, 31, v0
	v_lshlrev_b64 v[8:9], 4, v[0:1]
	v_lshlrev_b64 v[4:5], 4, v[4:5]
	v_add_co_u32_e32 v1, vcc, v8, v4
	v_addc_co_u32_e32 v4, vcc, v9, v5, vcc
	v_accvgpr_read_b32 v8, a24
	v_accvgpr_read_b32 v9, a25
	v_add_co_u32_e32 v10, vcc, v8, v1
	v_addc_co_u32_e32 v11, vcc, v9, v4, vcc
	v_accvgpr_read_b32 v8, a30
	v_accvgpr_read_b32 v9, a31
	s_mov_b64 s[46:47], 0
.LBB0_234:                              ;   Parent Loop BB0_29 Depth=1
                                        ; =>  This Inner Loop Header: Depth=2
	v_mov_b32_e32 v4, v2
	v_mov_b32_e32 v5, v3
	v_add_u32_e32 v0, v0, v20
	global_store_dwordx4 v[10:11], v[2:5], off
	v_cmp_le_i32_e32 vcc, s60, v0
	v_add_co_u32_e64 v10, s[18:19], v10, v58
	s_or_b64 s[46:47], vcc, s[46:47]
	v_addc_co_u32_e64 v11, vcc, v11, v59, s[18:19]
	s_andn2_b64 exec, exec, s[46:47]
	s_cbranch_execnz .LBB0_234
.LBB0_235:                              ;   in Loop: Header=BB0_29 Depth=1
	s_or_b64 exec, exec, s[44:45]
	v_accvgpr_read_b32 v0, a8
	v_accvgpr_read_b32 v1, a9
	s_waitcnt vmcnt(0) lgkmcnt(0)
	v_add_co_u32_e32 v2, vcc, v44, v0
	v_addc_co_u32_e32 v1, vcc, v45, v1, vcc
	v_add_co_u32_e64 v28, s[18:19], 1, v16
	s_andn2_b64 vcc, exec, s[30:31]
	v_addc_co_u32_e64 v29, s[18:19], 0, v17, s[18:19]
	s_cbranch_vccnz .LBB0_701
; %bb.236:                              ;   in Loop: Header=BB0_29 Depth=1
	v_accvgpr_read_b32 v0, a37
	v_accvgpr_write_b32 a51, v2
	v_add_co_u32_e32 v2, vcc, v0, v2
	v_accvgpr_read_b32 v0, a39
	v_addc_co_u32_e32 v3, vcc, v0, v1, vcc
	v_accvgpr_write_b32 a55, v3
	v_accvgpr_write_b32 a52, v1
	;; [unrolled: 1-line block ×3, first 2 shown]
	v_add_u16_e32 v8, 1, v16
	s_mov_b32 s76, 2
	s_branch .LBB0_238
.LBB0_237:                              ;   in Loop: Header=BB0_238 Depth=2
	s_or_b64 exec, exec, s[44:45]
	v_add_co_u32_e32 v34, vcc, 1, v34
	v_addc_co_u32_e32 v35, vcc, 0, v35, vcc
	s_add_i32 s76, s76, 1
	v_add_co_u32_e32 v28, vcc, 1, v28
	v_addc_co_u32_e32 v29, vcc, 0, v29, vcc
	s_cmp_eq_u32 s76, s20
	v_add_u16_e32 v8, 1, v8
	s_cbranch_scc1 .LBB0_702
.LBB0_238:                              ;   Parent Loop BB0_29 Depth=1
                                        ; =>  This Loop Header: Depth=2
                                        ;       Child Loop BB0_253 Depth 3
                                        ;       Child Loop BB0_269 Depth 3
	;; [unrolled: 1-line block ×3, first 2 shown]
                                        ;         Child Loop BB0_290 Depth 4
                                        ;       Child Loop BB0_690 Depth 3
                                        ;       Child Loop BB0_246 Depth 3
	s_sub_i32 s18, s20, s76
	s_ashr_i32 s19, s18, 31
	s_lshl_b64 s[18:19], s[18:19], 2
	s_waitcnt vmcnt(0) lgkmcnt(0)
	v_accvgpr_read_b32 v2, a6
	v_mov_b32_e32 v1, s19
	v_accvgpr_read_b32 v3, a7
	v_add_co_u32_e32 v0, vcc, s18, v2
	v_addc_co_u32_e32 v1, vcc, v3, v1, vcc
	flat_load_dword v2, v[0:1]
	s_and_saveexec_b64 s[18:19], s[6:7]
	s_cbranch_execnz .LBB0_247
; %bb.239:                              ;   in Loop: Header=BB0_238 Depth=2
	s_or_b64 exec, exec, s[18:19]
	s_and_saveexec_b64 s[18:19], s[10:11]
	s_cbranch_execnz .LBB0_262
.LBB0_240:                              ;   in Loop: Header=BB0_238 Depth=2
	s_or_b64 exec, exec, s[18:19]
	v_accvgpr_read_b32 v0, a2
	s_and_saveexec_b64 s[44:45], s[16:17]
	s_cbranch_execnz .LBB0_280
.LBB0_241:                              ;   in Loop: Header=BB0_238 Depth=2
	s_or_b64 exec, exec, s[44:45]
	s_and_saveexec_b64 s[18:19], s[10:11]
	s_cbranch_execnz .LBB0_683
.LBB0_242:                              ;   in Loop: Header=BB0_238 Depth=2
	s_or_b64 exec, exec, s[18:19]
	s_and_saveexec_b64 s[18:19], s[14:15]
	s_cbranch_execz .LBB0_244
.LBB0_243:                              ;   in Loop: Header=BB0_238 Depth=2
	s_waitcnt vmcnt(0) lgkmcnt(0)
	v_accvgpr_read_b32 v2, a26
	v_accvgpr_read_b32 v3, a27
	v_add_co_u32_e32 v2, vcc, 1, v2
	v_addc_co_u32_e32 v3, vcc, 0, v3, vcc
	v_accvgpr_write_b32 a27, v3
	v_accvgpr_read_b32 v4, a28
	v_accvgpr_write_b32 a26, v2
	v_accvgpr_read_b32 v5, a29
	flat_store_dwordx2 v[4:5], v[2:3]
.LBB0_244:                              ;   in Loop: Header=BB0_238 Depth=2
	s_or_b64 exec, exec, s[18:19]
	v_and_b32_e32 v54, 0x7ffffff8, v28
	v_cmp_eq_u64_e32 vcc, s[34:35], v[54:55]
	v_cmp_gt_i32_e64 s[18:19], s60, v0
	s_and_b64 s[18:19], vcc, s[18:19]
	s_and_saveexec_b64 s[44:45], s[18:19]
	s_cbranch_execz .LBB0_237
; %bb.245:                              ;   in Loop: Header=BB0_238 Depth=2
	v_and_b32_e32 v1, 7, v8
	s_waitcnt vmcnt(0) lgkmcnt(0)
	v_mul_lo_u32 v2, s60, v1
	v_ashrrev_i32_e32 v3, 31, v2
	v_lshlrev_b64 v[4:5], 4, v[2:3]
	v_mov_b32_e32 v1, v28
	v_add_co_u32_e64 v2, vcc, 0, 0
	v_addc_co_u32_e32 v3, vcc, 1, v1, vcc
	v_ashrrev_i32_e32 v1, 31, v0
	v_lshlrev_b64 v[10:11], 4, v[0:1]
	v_add_co_u32_e32 v1, vcc, v10, v4
	v_addc_co_u32_e32 v4, vcc, v11, v5, vcc
	v_accvgpr_read_b32 v10, a24
	v_accvgpr_read_b32 v11, a25
	v_add_co_u32_e32 v10, vcc, v10, v1
	v_addc_co_u32_e32 v11, vcc, v11, v4, vcc
	s_mov_b64 s[46:47], 0
.LBB0_246:                              ;   Parent Loop BB0_29 Depth=1
                                        ;     Parent Loop BB0_238 Depth=2
                                        ; =>    This Inner Loop Header: Depth=3
	v_mov_b32_e32 v4, v2
	v_mov_b32_e32 v5, v3
	v_add_u32_e32 v0, v0, v20
	global_store_dwordx4 v[10:11], v[2:5], off
	v_cmp_le_i32_e32 vcc, s60, v0
	v_add_co_u32_e64 v10, s[18:19], v10, v58
	s_or_b64 s[46:47], vcc, s[46:47]
	v_addc_co_u32_e64 v11, vcc, v11, v59, s[18:19]
	s_andn2_b64 exec, exec, s[46:47]
	s_cbranch_execnz .LBB0_246
	s_branch .LBB0_237
.LBB0_247:                              ;   in Loop: Header=BB0_238 Depth=2
	v_accvgpr_read_b32 v10, a20
	v_accvgpr_read_b32 v12, a22
	;; [unrolled: 1-line block ×3, first 2 shown]
	v_add_co_u32_e32 v0, vcc, 1, v12
	v_addc_co_u32_e32 v1, vcc, 0, v13, vcc
	v_add_co_u32_e32 v4, vcc, 8, v52
	v_addc_co_u32_e32 v5, vcc, 0, v53, vcc
	v_cmp_lt_u64_e32 vcc, v[4:5], v[0:1]
	v_accvgpr_read_b32 v11, a21
	s_and_saveexec_b64 s[44:45], vcc
	s_cbranch_execz .LBB0_259
; %bb.248:                              ;   in Loop: Header=BB0_238 Depth=2
	s_sleep 1
	flat_load_dwordx2 v[52:53], v[50:51] glc
	v_cmp_eq_u32_e32 vcc, 0, v30
	s_and_saveexec_b64 s[46:47], vcc
	s_cbranch_execz .LBB0_258
; %bb.249:                              ;   in Loop: Header=BB0_238 Depth=2
	v_cndmask_b32_e64 v3, 0, 1, vcc
	s_mov_b64 s[48:49], 0
                                        ; implicit-def: $sgpr50_sgpr51
	s_branch .LBB0_253
.LBB0_250:                              ;   in Loop: Header=BB0_253 Depth=3
	s_or_b64 exec, exec, s[58:59]
	s_orn2_b64 s[56:57], s[56:57], exec
.LBB0_251:                              ;   in Loop: Header=BB0_253 Depth=3
	s_or_b64 exec, exec, s[54:55]
	s_xor_b64 vcc, s[56:57], -1
	s_andn2_b64 s[50:51], s[50:51], exec
	s_and_b64 vcc, vcc, exec
	s_or_b64 s[50:51], s[50:51], vcc
.LBB0_252:                              ;   in Loop: Header=BB0_253 Depth=3
	s_or_b64 exec, exec, s[52:53]
	s_and_b64 vcc, exec, s[50:51]
	s_or_b64 s[48:49], vcc, s[48:49]
	s_andn2_b64 exec, exec, s[48:49]
	s_cbranch_execz .LBB0_257
.LBB0_253:                              ;   Parent Loop BB0_29 Depth=1
                                        ;     Parent Loop BB0_238 Depth=2
                                        ; =>    This Inner Loop Header: Depth=3
	s_waitcnt vmcnt(0) lgkmcnt(0)
	v_add_co_u32_e32 v4, vcc, 8, v52
	v_addc_co_u32_e32 v5, vcc, 0, v53, vcc
	v_cmp_lt_u64_e32 vcc, v[4:5], v[0:1]
	v_mov_b32_e32 v30, 0
	s_or_b64 s[50:51], s[50:51], exec
	s_and_saveexec_b64 s[52:53], vcc
	s_cbranch_execz .LBB0_252
; %bb.254:                              ;   in Loop: Header=BB0_253 Depth=3
	s_sleep 1
	flat_load_dwordx2 v[52:53], v[50:51] glc
	v_add_u32_e32 v3, 1, v3
	v_cmp_eq_u32_e32 vcc, s61, v3
	s_mov_b64 s[56:57], -1
	v_mov_b32_e32 v30, 0
	s_and_saveexec_b64 s[54:55], vcc
	s_cbranch_execz .LBB0_251
; %bb.255:                              ;   in Loop: Header=BB0_253 Depth=3
	s_trap 2
	ds_read_b64 v[4:5], v0
	v_mov_b32_e32 v3, 0
	v_mov_b32_e32 v30, 0
	s_waitcnt vmcnt(0) lgkmcnt(0)
	flat_load_dword v4, v[4:5] glc
	s_waitcnt vmcnt(0) lgkmcnt(0)
	buffer_invl2
	buffer_wbinvl1_vol
	v_cmp_ne_u32_e32 vcc, 0, v4
	s_and_saveexec_b64 s[58:59], vcc
	s_cbranch_execz .LBB0_250
; %bb.256:                              ;   in Loop: Header=BB0_253 Depth=3
	v_mov_b32_e32 v30, 1
	s_xor_b64 s[56:57], exec, -1
	ds_write_b32 v0, v4
	s_trap 2
	s_branch .LBB0_250
.LBB0_257:                              ;   in Loop: Header=BB0_238 Depth=2
	s_or_b64 exec, exec, s[48:49]
.LBB0_258:                              ;   in Loop: Header=BB0_238 Depth=2
	s_or_b64 exec, exec, s[46:47]
.LBB0_259:                              ;   in Loop: Header=BB0_238 Depth=2
	s_or_b64 exec, exec, s[44:45]
	s_and_saveexec_b64 s[44:45], s[8:9]
	s_cbranch_execz .LBB0_261
; %bb.260:                              ;   in Loop: Header=BB0_238 Depth=2
	v_accvgpr_read_b32 v10, a20
	v_accvgpr_read_b32 v12, a22
	v_and_b32_e32 v54, 0x7ffffff8, v12
	v_mov_b32_e32 v3, s21
	v_cmp_eq_u64_e32 vcc, s[34:35], v[54:55]
	v_accvgpr_read_b32 v4, a50
	v_accvgpr_read_b32 v11, a21
	v_cndmask_b32_e32 v4, v4, v3, vcc
	v_and_b32_e32 v3, 7, v12
	v_ashrrev_i32_e32 v5, 31, v4
	v_mad_u64_u32 v[10:11], vcc, v3, 24, v[10:11]
	flat_store_dwordx2 v[10:11], v[4:5] offset:8
	s_waitcnt vmcnt(0)
.LBB0_261:                              ;   in Loop: Header=BB0_238 Depth=2
	s_or_b64 exec, exec, s[44:45]
	v_accvgpr_write_b32 a23, v1
	v_accvgpr_write_b32 a22, v0
	s_or_b64 exec, exec, s[18:19]
	s_and_saveexec_b64 s[18:19], s[10:11]
	s_cbranch_execz .LBB0_240
.LBB0_262:                              ;   in Loop: Header=BB0_238 Depth=2
	s_and_saveexec_b64 vcc, s[28:29]
	s_xor_b64 s[44:45], exec, vcc
	s_cbranch_execz .LBB0_277
; %bb.263:                              ;   in Loop: Header=BB0_238 Depth=2
	s_and_saveexec_b64 s[46:47], s[12:13]
	s_cbranch_execz .LBB0_276
; %bb.264:                              ;   in Loop: Header=BB0_238 Depth=2
	s_mov_b64 s[50:51], exec
	v_mbcnt_lo_u32_b32 v0, s50, 0
	v_mbcnt_hi_u32_b32 v0, s51, v0
	v_cmp_eq_u32_e32 vcc, 0, v0
	s_waitcnt vmcnt(0) lgkmcnt(0)
	buffer_wbinvl1_vol
	s_and_saveexec_b64 s[48:49], vcc
	s_cbranch_execz .LBB0_266
; %bb.265:                              ;   in Loop: Header=BB0_238 Depth=2
	s_bcnt1_i32_b64 vcc_lo, s[50:51]
	v_mov_b32_e32 v54, vcc_lo
	ds_add_u64 v0, v[54:55]
	s_trap 2
.LBB0_266:                              ;   in Loop: Header=BB0_238 Depth=2
	s_or_b64 exec, exec, s[48:49]
	s_trap 2
	ds_read_b64 v[0:1], v0
	v_accvgpr_read_b32 v4, a36
	v_add_co_u32_e32 v42, vcc, v42, v4
	v_accvgpr_read_b32 v3, a47
	v_addc_co_u32_e32 v43, vcc, v43, v3, vcc
	s_waitcnt lgkmcnt(0)
	v_cmp_lt_u64_e32 vcc, v[0:1], v[42:43]
	s_and_saveexec_b64 s[48:49], vcc
	s_cbranch_execz .LBB0_275
; %bb.267:                              ;   in Loop: Header=BB0_238 Depth=2
	s_mov_b32 s77, 0
	s_mov_b64 s[50:51], 0
                                        ; implicit-def: $sgpr52_sgpr53
                                        ; implicit-def: $sgpr54_sgpr55
	s_branch .LBB0_269
.LBB0_268:                              ;   in Loop: Header=BB0_269 Depth=3
	s_or_b64 exec, exec, s[58:59]
	s_and_b64 vcc, exec, vcc
	s_or_b64 s[50:51], vcc, s[50:51]
	s_andn2_b64 vcc, s[52:53], exec
	s_and_b64 s[52:53], s[54:55], exec
	s_or_b64 s[52:53], vcc, s[52:53]
	s_andn2_b64 exec, exec, s[50:51]
	s_cbranch_execz .LBB0_273
.LBB0_269:                              ;   Parent Loop BB0_29 Depth=1
                                        ;     Parent Loop BB0_238 Depth=2
                                        ; =>    This Inner Loop Header: Depth=3
	s_add_i32 s77, s77, 1
	s_cmpk_lg_i32 s77, 0x2710
	s_cselect_b64 s[56:57], -1, 0
	s_and_b64 vcc, exec, s[56:57]
                                        ; implicit-def: $sgpr58_sgpr59
	s_cbranch_vccnz .LBB0_271
; %bb.270:                              ;   in Loop: Header=BB0_269 Depth=3
	s_trap 2
	ds_read_b64 v[0:1], v0
	s_andn2_b64 s[56:57], s[56:57], exec
	s_mov_b32 s77, 0
	s_mov_b64 s[58:59], -1
	s_waitcnt lgkmcnt(0)
	flat_load_dword v0, v[0:1] glc
	s_waitcnt vmcnt(0) lgkmcnt(0)
	buffer_invl2
	buffer_wbinvl1_vol
	v_cmp_eq_u32_e32 vcc, 0, v0
	s_and_b64 vcc, vcc, exec
	s_or_b64 s[56:57], s[56:57], vcc
.LBB0_271:                              ;   in Loop: Header=BB0_269 Depth=3
	s_andn2_b64 s[54:55], s[54:55], exec
	s_and_b64 s[58:59], s[58:59], exec
	s_mov_b64 vcc, -1
	s_or_b64 s[54:55], s[54:55], s[58:59]
	s_and_saveexec_b64 s[58:59], s[56:57]
	s_cbranch_execz .LBB0_268
; %bb.272:                              ;   in Loop: Header=BB0_269 Depth=3
	s_sleep 1
	s_trap 2
	ds_read_b64 v[0:1], v0
	s_andn2_b64 s[54:55], s[54:55], exec
	s_waitcnt lgkmcnt(0)
	v_cmp_ge_u64_e32 vcc, v[0:1], v[42:43]
	s_orn2_b64 vcc, vcc, exec
	s_branch .LBB0_268
.LBB0_273:                              ;   in Loop: Header=BB0_238 Depth=2
	s_or_b64 exec, exec, s[50:51]
	s_and_saveexec_b64 vcc, s[52:53]
	s_xor_b64 vcc, exec, vcc
	s_cbranch_execz .LBB0_275
; %bb.274:                              ;   in Loop: Header=BB0_238 Depth=2
	v_mov_b32_e32 v0, 1
	ds_write_b32 v0, v0
	s_trap 2
.LBB0_275:                              ;   in Loop: Header=BB0_238 Depth=2
	s_or_b64 exec, exec, s[48:49]
	;;#ASMSTART
	s_wakeup
	;;#ASMEND
.LBB0_276:                              ;   in Loop: Header=BB0_238 Depth=2
	s_or_b64 exec, exec, s[46:47]
.LBB0_277:                              ;   in Loop: Header=BB0_238 Depth=2
	s_andn2_saveexec_b64 vcc, s[44:45]
	s_cbranch_execz .LBB0_279
; %bb.278:                              ;   in Loop: Header=BB0_238 Depth=2
	s_waitcnt vmcnt(0) lgkmcnt(0)
	buffer_wbinvl1_vol
	s_barrier
.LBB0_279:                              ;   in Loop: Header=BB0_238 Depth=2
	s_or_b64 exec, exec, vcc
	s_or_b64 exec, exec, s[18:19]
	v_accvgpr_read_b32 v0, a2
	s_and_saveexec_b64 s[44:45], s[16:17]
	s_cbranch_execz .LBB0_241
.LBB0_280:                              ;   in Loop: Header=BB0_238 Depth=2
	v_accvgpr_read_b32 v4, a54
	s_waitcnt vmcnt(0) lgkmcnt(0)
	v_ashrrev_i32_e32 v0, 31, v2
	v_accvgpr_read_b32 v3, a3
	v_accvgpr_read_b32 v5, a55
	;; [unrolled: 1-line block ×3, first 2 shown]
	v_mad_u64_u32 v[44:45], s[18:19], v3, v2, v[4:5]
	v_mul_lo_u32 v1, v1, v2
	v_mul_lo_u32 v0, v3, v0
	v_add3_u32 v45, v1, v45, v0
	v_and_b32_e32 v0, 7, v34
	v_mul_lo_u32 v0, v0, s60
	v_ashrrev_i32_e32 v1, 31, v0
	v_lshlrev_b64 v[0:1], 4, v[0:1]
	v_accvgpr_read_b32 v2, a18
	v_add_co_u32_e32 v9, vcc, v2, v0
	v_and_b32_e32 v0, 7, v28
	v_accvgpr_read_b32 v3, a19
	v_mul_lo_u32 v0, v0, s60
	v_addc_co_u32_e32 v32, vcc, v3, v1, vcc
	v_ashrrev_i32_e32 v1, 31, v0
	v_lshlrev_b64 v[0:1], 4, v[0:1]
	v_accvgpr_read_b32 v2, a24
	v_accvgpr_read_b32 v3, a25
	v_add_co_u32_e32 v60, vcc, v2, v0
	v_addc_co_u32_e32 v61, vcc, v3, v1, vcc
	v_mov_b32_e32 v1, v28
	v_add_co_u32_e64 v31, vcc, 0, 0
	v_add_u32_e32 v33, 1, v34
	v_addc_co_u32_e32 v3, vcc, 1, v1, vcc
	s_mov_b64 s[46:47], 0
	v_mov_b32_e32 v21, v46
	v_accvgpr_read_b32 v0, a2
	s_branch .LBB0_282
.LBB0_281:                              ;   in Loop: Header=BB0_282 Depth=3
	s_or_b64 exec, exec, s[18:19]
	v_lshlrev_b32_e32 v11, 8, v40
	v_add_co_u32_e32 v44, vcc, v44, v56
	v_perm_b32 v12, v11, v17, s71
	v_lshlrev_b32_e32 v11, 8, v26
	v_addc_co_u32_e32 v45, vcc, v45, v57, vcc
	v_lshlrev_b32_e32 v13, 24, v10
	v_perm_b32 v10, v11, v19, s71
	v_and_b32_e32 v2, 0xff, v23
	v_lshl_or_b32 v1, v1, 16, v10
	v_add_co_u32_e32 v10, vcc, v60, v4
	v_lshlrev_b32_e32 v2, 16, v2
	v_addc_co_u32_e32 v11, vcc, v61, v5, vcc
	v_sub_u32_e32 v21, v21, v56
	v_lshl_or_b32 v2, v16, 24, v2
	v_cmp_gt_i32_e32 vcc, 1, v21
	v_or3_b32 v2, v2, v12, v31
	v_or3_b32 v4, v13, v1, v31
	v_mov_b32_e32 v5, v3
	s_or_b64 s[46:47], vcc, s[46:47]
	v_add_u32_e32 v0, v0, v20
	global_store_dwordx4 v[10:11], v[2:5], off
	s_andn2_b64 exec, exec, s[46:47]
	s_cbranch_execz .LBB0_682
.LBB0_282:                              ;   Parent Loop BB0_29 Depth=1
                                        ;     Parent Loop BB0_238 Depth=2
                                        ; =>    This Loop Header: Depth=3
                                        ;         Child Loop BB0_290 Depth 4
	v_and_b32_e32 v4, -4, v44
	v_mov_b32_e32 v5, v45
	global_load_dword v2, v[4:5], off glc slc
	v_min_u32_e32 v1, 8, v21
	v_and_b32_e32 v10, 3, v44
	v_add_co_u32_e32 v10, vcc, v10, v1
	v_addc_co_u32_e64 v11, s[18:19], 0, 0, vcc
	v_mov_b32_e32 v22, 0
	v_cmp_lt_u64_e32 vcc, 4, v[10:11]
	v_mov_b32_e32 v23, 0
	s_and_saveexec_b64 s[18:19], vcc
	s_cbranch_execz .LBB0_284
; %bb.283:                              ;   in Loop: Header=BB0_282 Depth=3
	global_load_dword v23, v[4:5], off offset:4 glc slc
.LBB0_284:                              ;   in Loop: Header=BB0_282 Depth=3
	s_or_b64 exec, exec, s[18:19]
	v_cmp_lt_u64_e32 vcc, 8, v[10:11]
	s_and_saveexec_b64 s[18:19], vcc
	s_cbranch_execz .LBB0_286
; %bb.285:                              ;   in Loop: Header=BB0_282 Depth=3
	global_load_dword v22, v[4:5], off offset:8 glc slc
.LBB0_286:                              ;   in Loop: Header=BB0_282 Depth=3
	s_or_b64 exec, exec, s[18:19]
	v_ashrrev_i32_e32 v1, 31, v0
	v_lshlrev_b64 v[4:5], 4, v[0:1]
	v_add_co_u32_e32 v10, vcc, v9, v4
	v_addc_co_u32_e32 v11, vcc, v32, v5, vcc
	global_load_dwordx4 v[16:19], v[10:11], off glc slc
	v_cmp_eq_u32_e32 vcc, 0, v30
	s_and_saveexec_b64 s[48:49], vcc
	s_cbranch_execz .LBB0_298
; %bb.287:                              ;   in Loop: Header=BB0_282 Depth=3
	s_waitcnt vmcnt(0)
	v_cmp_ne_u32_e32 vcc, v33, v17
	v_cmp_ne_u32_e64 s[18:19], v33, v19
	s_or_b64 s[18:19], vcc, s[18:19]
	v_mov_b32_e32 v30, 0
	s_and_saveexec_b64 s[50:51], s[18:19]
	s_cbranch_execz .LBB0_297
; %bb.288:                              ;   in Loop: Header=BB0_282 Depth=3
	s_mov_b32 s56, 1
	s_mov_b64 s[52:53], 0
	v_mov_b32_e32 v30, 0
	s_branch .LBB0_290
.LBB0_289:                              ;   in Loop: Header=BB0_290 Depth=4
	s_or_b64 exec, exec, s[54:55]
	s_and_b64 s[18:19], exec, s[18:19]
	s_or_b64 s[52:53], s[18:19], s[52:53]
	s_andn2_b64 exec, exec, s[52:53]
	s_cbranch_execz .LBB0_296
.LBB0_290:                              ;   Parent Loop BB0_29 Depth=1
                                        ;     Parent Loop BB0_238 Depth=2
                                        ;       Parent Loop BB0_282 Depth=3
                                        ; =>      This Inner Loop Header: Depth=4
	global_load_dwordx4 v[16:19], v[10:11], off glc slc
	s_add_i32 s56, s56, 1
	s_cmpk_lg_i32 s56, 0x2710
	s_cbranch_scc1 .LBB0_294
; %bb.291:                              ;   in Loop: Header=BB0_290 Depth=4
	s_trap 2
	ds_read_b64 v[26:27], v0
	s_waitcnt vmcnt(0) lgkmcnt(0)
	flat_load_dword v1, v[26:27] glc
	s_waitcnt vmcnt(0) lgkmcnt(0)
	buffer_invl2
	buffer_wbinvl1_vol
	v_cmp_ne_u32_e32 vcc, 0, v1
	s_and_saveexec_b64 s[18:19], vcc
	s_cbranch_execz .LBB0_293
; %bb.292:                              ;   in Loop: Header=BB0_290 Depth=4
	v_mov_b32_e32 v30, 1
	ds_write_b32 v0, v1
	s_trap 2
.LBB0_293:                              ;   in Loop: Header=BB0_290 Depth=4
	s_or_b64 exec, exec, s[18:19]
	s_mov_b32 s56, 0
	v_mov_b32_e32 v1, v30
	v_cmp_eq_u32_e32 vcc, 0, v1
	s_mov_b64 s[18:19], -1
	s_and_saveexec_b64 s[54:55], vcc
	s_cbranch_execz .LBB0_289
	s_branch .LBB0_295
.LBB0_294:                              ;   in Loop: Header=BB0_290 Depth=4
	v_mov_b32_e32 v1, 0
	v_cmp_eq_u32_e32 vcc, 0, v1
	s_mov_b64 s[18:19], -1
	s_and_saveexec_b64 s[54:55], vcc
	s_cbranch_execz .LBB0_289
.LBB0_295:                              ;   in Loop: Header=BB0_290 Depth=4
	s_waitcnt vmcnt(0)
	v_cmp_eq_u32_e32 vcc, v33, v17
	v_cmp_eq_u32_e64 s[18:19], v33, v19
	s_and_b64 s[18:19], vcc, s[18:19]
	s_orn2_b64 s[18:19], s[18:19], exec
	s_branch .LBB0_289
.LBB0_296:                              ;   in Loop: Header=BB0_282 Depth=3
	s_or_b64 exec, exec, s[52:53]
.LBB0_297:                              ;   in Loop: Header=BB0_282 Depth=3
	s_or_b64 exec, exec, s[50:51]
.LBB0_298:                              ;   in Loop: Header=BB0_282 Depth=3
	s_or_b64 exec, exec, s[48:49]
	v_lshlrev_b32_e32 v1, 3, v44
	s_waitcnt vmcnt(1)
	v_alignbit_b32 v54, v23, v2, v1
	v_cmp_ne_u16_sdwa vcc, v54, v55 src0_sel:BYTE_0 src1_sel:DWORD
	v_mov_b32_e32 v2, 0
	s_and_saveexec_b64 s[18:19], vcc
	s_cbranch_execz .LBB0_306
; %bb.299:                              ;   in Loop: Header=BB0_282 Depth=3
	v_cmp_ne_u16_sdwa vcc, sext(v54), s63 src0_sel:BYTE_0 src1_sel:DWORD
	v_bfrev_b32_e32 v2, 1
	s_and_saveexec_b64 s[48:49], vcc
	s_cbranch_execz .LBB0_305
; %bb.300:                              ;   in Loop: Header=BB0_282 Depth=3
	v_and_b32_e32 v2, 0x7c, v54
	v_and_b32_e32 v10, 3, v54
	v_cmp_ne_u32_e32 vcc, s64, v2
                                        ; implicit-def: $vgpr2
	s_and_saveexec_b64 s[50:51], vcc
	s_xor_b64 s[50:51], exec, s[50:51]
	s_cbranch_execz .LBB0_302
; %bb.301:                              ;   in Loop: Header=BB0_282 Depth=3
	v_ffbh_u32_e32 v11, v10
	v_bfe_u32 v2, v54, 2, 5
	v_min_u32_e32 v11, 32, v11
	v_subrev_u32_e32 v26, 29, v11
	v_sub_u32_e32 v11, 30, v11
	v_cmp_eq_u32_e32 vcc, 0, v2
	v_lshlrev_b64 v[26:27], v26, v[54:55]
	v_cndmask_b32_e32 v2, v2, v11, vcc
	v_and_b32_e32 v26, 3, v26
	v_lshlrev_b32_e32 v11, 24, v54
	v_lshl_add_u32 v2, v2, 23, v7
	v_cndmask_b32_e32 v10, v10, v26, vcc
	v_and_or_b32 v2, v11, s65, v2
	v_lshl_or_b32 v2, v10, 21, v2
                                        ; implicit-def: $vgpr10
.LBB0_302:                              ;   in Loop: Header=BB0_282 Depth=3
	s_andn2_saveexec_b64 s[50:51], s[50:51]
; %bb.303:                              ;   in Loop: Header=BB0_282 Depth=3
	v_cmp_gt_i16_sdwa vcc, sext(v54), v47 src0_sel:BYTE_0 src1_sel:DWORD
	v_cndmask_b32_e32 v2, v24, v25, vcc
	v_cmp_eq_u32_e32 vcc, 0, v10
	v_cndmask_b32_e32 v2, v6, v2, vcc
; %bb.304:                              ;   in Loop: Header=BB0_282 Depth=3
	s_or_b64 exec, exec, s[50:51]
.LBB0_305:                              ;   in Loop: Header=BB0_282 Depth=3
	s_or_b64 exec, exec, s[48:49]
.LBB0_306:                              ;   in Loop: Header=BB0_282 Depth=3
	s_or_b64 exec, exec, s[18:19]
	v_mul_f32_e32 v11, v62, v2
	v_and_b32_sdwa v2, v11, s66 dst_sel:DWORD dst_unused:UNUSED_PAD src0_sel:BYTE_3 src1_sel:DWORD
	v_and_b32_e32 v26, 0x7f800000, v11
	v_mov_b32_e32 v27, v55
	v_and_b32_e32 v40, 0x7fffff, v11
	v_mov_b32_e32 v41, v55
	v_or_b32_e32 v10, 0x7b, v2
	v_cmp_ne_u64_e32 vcc, s[38:39], v[26:27]
	s_and_saveexec_b64 s[18:19], vcc
	s_xor_b64 s[48:49], exec, s[18:19]
	s_cbranch_execz .LBB0_316
; %bb.307:                              ;   in Loop: Header=BB0_282 Depth=3
	v_and_b32_e32 v26, 0x7fffffff, v11
	v_mov_b32_e32 v27, v55
	v_cmp_gt_u64_e32 vcc, s[40:41], v[26:27]
	s_and_saveexec_b64 s[50:51], vcc
	s_cbranch_execz .LBB0_315
; %bb.308:                              ;   in Loop: Header=BB0_282 Depth=3
	v_cmp_ne_u32_e32 vcc, 0, v11
	v_mov_b32_e32 v10, 0
	s_and_saveexec_b64 s[52:53], vcc
	s_cbranch_execz .LBB0_314
; %bb.309:                              ;   in Loop: Header=BB0_282 Depth=3
	v_bfe_u32 v10, v11, 23, 8
	v_sub_u32_e32 v26, 0x71, v10
	v_cmp_gt_u32_e32 vcc, s67, v10
	v_cndmask_b32_e32 v26, 0, v26, vcc
	v_cmp_eq_u32_e32 vcc, 0, v10
	v_cndmask_b32_e32 v26, v26, v49, vcc
	v_add_u32_e32 v11, 0xffffff81, v10
	v_add_u32_e32 v10, 21, v26
	v_or_b32_e32 v27, 0x800000, v40
	v_cndmask_b32_e32 v36, v11, v48, vcc
	v_lshlrev_b64 v[10:11], v10, -1
	v_cndmask_b32_e32 v40, v27, v40, vcc
	v_not_b32_e32 v10, v10
	v_and_b32_e32 v10, v40, v10
	v_add_u32_e32 v27, 20, v26
	v_lshrrev_b64 v[40:41], v26, v[40:41]
	v_not_b32_e32 v11, v11
	v_lshlrev_b64 v[50:51], v27, 1
	v_lshrrev_b32_e32 v27, 23, v40
	v_and_b32_e32 v11, 0, v11
	v_add3_u32 v36, v26, v36, v27
	v_bfe_u32 v26, v40, 21, 1
	v_add_u32_e32 v26, -1, v26
	v_cmp_eq_u64_e32 vcc, v[10:11], v[50:51]
	v_cndmask_b32_e32 v10, 0, v26, vcc
	v_add_u32_e32 v10, v10, v40
	v_and_b32_e32 v10, 0x1fffff, v10
	v_add_co_u32_e32 v10, vcc, v10, v40
	v_add_u32_e32 v27, 14, v36
	v_addc_co_u32_e32 v11, vcc, 0, v41, vcc
	v_cmp_ne_u32_e32 vcc, 0, v27
                                        ; implicit-def: $vgpr26
	s_and_saveexec_b64 s[18:19], vcc
	s_xor_b64 s[18:19], exec, s[18:19]
; %bb.310:                              ;   in Loop: Header=BB0_282 Depth=3
	v_add_u32_e32 v26, 15, v36
	v_cmp_lt_u64_e32 vcc, s[42:43], v[10:11]
	v_cndmask_b32_e32 v26, v27, v26, vcc
	v_cndmask_b32_e64 v27, 0, 1, vcc
	v_lshrrev_b64 v[10:11], v27, v[10:11]
; %bb.311:                              ;   in Loop: Header=BB0_282 Depth=3
	s_andn2_saveexec_b64 s[18:19], s[18:19]
; %bb.312:                              ;   in Loop: Header=BB0_282 Depth=3
	v_bfe_u32 v26, v10, 23, 1
; %bb.313:                              ;   in Loop: Header=BB0_282 Depth=3
	s_or_b64 exec, exec, s[18:19]
	v_lshrrev_b64 v[10:11], 21, v[10:11]
	v_cmp_gt_i32_e32 vcc, 32, v26
	v_cndmask_b32_e32 v11, 0, v11, vcc
	v_cndmask_b32_e32 v10, 3, v10, vcc
	v_cmp_eq_u64_e64 s[18:19], 0, v[10:11]
	v_min_i32_e32 v11, 31, v26
	v_cmp_eq_u32_e32 vcc, 0, v26
	v_lshlrev_b32_e32 v11, 2, v11
	v_and_or_b32 v10, v10, 3, v11
	s_and_b64 s[18:19], vcc, s[18:19]
	v_cndmask_b32_e64 v10, v10, 0, s[18:19]
	v_or_b32_e32 v10, v10, v2
.LBB0_314:                              ;   in Loop: Header=BB0_282 Depth=3
	s_or_b64 exec, exec, s[52:53]
.LBB0_315:                              ;   in Loop: Header=BB0_282 Depth=3
	s_or_b64 exec, exec, s[50:51]
                                        ; implicit-def: $vgpr11
                                        ; implicit-def: $vgpr40_vgpr41
.LBB0_316:                              ;   in Loop: Header=BB0_282 Depth=3
	s_andn2_saveexec_b64 s[18:19], s[48:49]
; %bb.317:                              ;   in Loop: Header=BB0_282 Depth=3
	v_or_b32_sdwa v2, v11, s68 dst_sel:DWORD dst_unused:UNUSED_PAD src0_sel:BYTE_3 src1_sel:DWORD
	v_cmp_eq_u64_e32 vcc, 0, v[40:41]
	v_cndmask_b32_e32 v10, v2, v10, vcc
; %bb.318:                              ;   in Loop: Header=BB0_282 Depth=3
	s_or_b64 exec, exec, s[18:19]
	v_lshrrev_b16_e32 v40, 8, v54
	v_cmp_ne_u16_e32 vcc, 0, v40
	v_mov_b32_e32 v2, 0
	s_and_saveexec_b64 s[18:19], vcc
	s_cbranch_execz .LBB0_326
; %bb.319:                              ;   in Loop: Header=BB0_282 Depth=3
	v_cmp_ne_u16_e32 vcc, s66, v40
	v_bfrev_b32_e32 v2, 1
	s_and_saveexec_b64 s[48:49], vcc
	s_cbranch_execz .LBB0_325
; %bb.320:                              ;   in Loop: Header=BB0_282 Depth=3
	v_and_b32_e32 v2, 0x7c, v40
	v_and_b32_e32 v11, 3, v40
	v_cmp_ne_u32_e32 vcc, s64, v2
                                        ; implicit-def: $vgpr2
	s_and_saveexec_b64 s[50:51], vcc
	s_xor_b64 s[50:51], exec, s[50:51]
	s_cbranch_execz .LBB0_322
; %bb.321:                              ;   in Loop: Header=BB0_282 Depth=3
	v_ffbh_u32_e32 v26, v11
	v_min_u32_e32 v36, 32, v26
	v_mov_b32_e32 v41, v55
	v_subrev_u32_e32 v26, 29, v36
	v_bfe_u32 v2, v40, 2, 5
	v_lshlrev_b64 v[26:27], v26, v[40:41]
	v_sub_u32_e32 v27, 30, v36
	v_cmp_eq_u32_e32 vcc, 0, v2
	v_and_b32_e32 v26, 3, v26
	v_cndmask_b32_e32 v2, v2, v27, vcc
	v_cndmask_b32_e32 v11, v11, v26, vcc
	v_lshlrev_b32_e32 v26, 16, v54
	v_lshl_add_u32 v2, v2, 23, v7
	v_and_or_b32 v2, v26, s65, v2
	v_lshl_or_b32 v2, v11, 21, v2
                                        ; implicit-def: $vgpr11
.LBB0_322:                              ;   in Loop: Header=BB0_282 Depth=3
	s_andn2_saveexec_b64 s[50:51], s[50:51]
; %bb.323:                              ;   in Loop: Header=BB0_282 Depth=3
	v_cmp_lt_i16_e32 vcc, -1, v54
	v_cndmask_b32_e32 v2, v24, v25, vcc
	v_cmp_eq_u32_e32 vcc, 0, v11
	v_cndmask_b32_e32 v2, v6, v2, vcc
; %bb.324:                              ;   in Loop: Header=BB0_282 Depth=3
	s_or_b64 exec, exec, s[50:51]
.LBB0_325:                              ;   in Loop: Header=BB0_282 Depth=3
	s_or_b64 exec, exec, s[48:49]
.LBB0_326:                              ;   in Loop: Header=BB0_282 Depth=3
	s_or_b64 exec, exec, s[18:19]
	v_mul_f32_e32 v26, v62, v2
	v_and_b32_sdwa v2, v26, s66 dst_sel:DWORD dst_unused:UNUSED_PAD src0_sel:BYTE_3 src1_sel:DWORD
	v_and_b32_e32 v36, 0x7f800000, v26
	v_mov_b32_e32 v37, v55
	v_and_b32_e32 v40, 0x7fffff, v26
	v_mov_b32_e32 v41, v55
	v_or_b32_e32 v11, 0x7b, v2
	v_cmp_ne_u64_e32 vcc, s[38:39], v[36:37]
	s_and_saveexec_b64 s[18:19], vcc
	s_xor_b64 s[48:49], exec, s[18:19]
	s_cbranch_execz .LBB0_336
; %bb.327:                              ;   in Loop: Header=BB0_282 Depth=3
	v_and_b32_e32 v36, 0x7fffffff, v26
	v_mov_b32_e32 v37, v55
	v_cmp_gt_u64_e32 vcc, s[40:41], v[36:37]
	s_and_saveexec_b64 s[50:51], vcc
	s_cbranch_execz .LBB0_335
; %bb.328:                              ;   in Loop: Header=BB0_282 Depth=3
	v_cmp_ne_u32_e32 vcc, 0, v26
	v_mov_b32_e32 v11, 0
	s_and_saveexec_b64 s[52:53], vcc
	s_cbranch_execz .LBB0_334
; %bb.329:                              ;   in Loop: Header=BB0_282 Depth=3
	v_bfe_u32 v11, v26, 23, 8
	v_sub_u32_e32 v27, 0x71, v11
	v_cmp_gt_u32_e32 vcc, s67, v11
	v_cndmask_b32_e32 v27, 0, v27, vcc
	v_cmp_eq_u32_e32 vcc, 0, v11
	v_add_u32_e32 v26, 0xffffff81, v11
	v_cndmask_b32_e32 v38, v27, v49, vcc
	v_cndmask_b32_e32 v11, v26, v48, vcc
	v_add_u32_e32 v26, 21, v38
	v_or_b32_e32 v36, 0x800000, v40
	v_lshlrev_b64 v[26:27], v26, -1
	v_cndmask_b32_e32 v40, v36, v40, vcc
	v_not_b32_e32 v26, v26
	v_and_b32_e32 v36, v40, v26
	v_add_u32_e32 v26, 20, v38
	v_lshrrev_b64 v[40:41], v38, v[40:41]
	v_not_b32_e32 v27, v27
	v_lshlrev_b64 v[50:51], v26, 1
	v_lshrrev_b32_e32 v26, 23, v40
	v_and_b32_e32 v37, 0, v27
	v_add3_u32 v27, v38, v11, v26
	v_bfe_u32 v11, v40, 21, 1
	v_add_u32_e32 v11, -1, v11
	v_cmp_eq_u64_e32 vcc, v[36:37], v[50:51]
	v_cndmask_b32_e32 v11, 0, v11, vcc
	v_add_u32_e32 v11, v11, v40
	v_and_b32_e32 v11, 0x1fffff, v11
	v_add_co_u32_e32 v40, vcc, v11, v40
	v_add_u32_e32 v26, 14, v27
	v_addc_co_u32_e32 v41, vcc, 0, v41, vcc
	v_cmp_ne_u32_e32 vcc, 0, v26
                                        ; implicit-def: $vgpr11
	s_and_saveexec_b64 s[18:19], vcc
	s_xor_b64 s[18:19], exec, s[18:19]
; %bb.330:                              ;   in Loop: Header=BB0_282 Depth=3
	v_add_u32_e32 v11, 15, v27
	v_cmp_lt_u64_e32 vcc, s[42:43], v[40:41]
	v_cndmask_b32_e32 v11, v26, v11, vcc
	v_cndmask_b32_e64 v26, 0, 1, vcc
	v_lshrrev_b64 v[40:41], v26, v[40:41]
; %bb.331:                              ;   in Loop: Header=BB0_282 Depth=3
	s_andn2_saveexec_b64 s[18:19], s[18:19]
; %bb.332:                              ;   in Loop: Header=BB0_282 Depth=3
	v_bfe_u32 v11, v40, 23, 1
; %bb.333:                              ;   in Loop: Header=BB0_282 Depth=3
	s_or_b64 exec, exec, s[18:19]
	v_lshrrev_b64 v[26:27], 21, v[40:41]
	v_cmp_gt_i32_e32 vcc, 32, v11
	v_cndmask_b32_e32 v27, 0, v27, vcc
	v_cndmask_b32_e32 v26, 3, v26, vcc
	v_cmp_eq_u32_e32 vcc, 0, v11
	v_min_i32_e32 v11, 31, v11
	v_cmp_eq_u64_e64 s[18:19], 0, v[26:27]
	v_lshlrev_b32_e32 v11, 2, v11
	v_and_or_b32 v11, v26, 3, v11
	s_and_b64 s[18:19], vcc, s[18:19]
	v_cndmask_b32_e64 v11, v11, 0, s[18:19]
	v_or_b32_e32 v11, v11, v2
.LBB0_334:                              ;   in Loop: Header=BB0_282 Depth=3
	s_or_b64 exec, exec, s[52:53]
.LBB0_335:                              ;   in Loop: Header=BB0_282 Depth=3
	s_or_b64 exec, exec, s[50:51]
                                        ; implicit-def: $vgpr26
                                        ; implicit-def: $vgpr40_vgpr41
.LBB0_336:                              ;   in Loop: Header=BB0_282 Depth=3
	s_andn2_saveexec_b64 s[18:19], s[48:49]
; %bb.337:                              ;   in Loop: Header=BB0_282 Depth=3
	v_or_b32_sdwa v2, v26, s68 dst_sel:DWORD dst_unused:UNUSED_PAD src0_sel:BYTE_3 src1_sel:DWORD
	v_cmp_eq_u64_e32 vcc, 0, v[40:41]
	v_cndmask_b32_e32 v11, v2, v11, vcc
; %bb.338:                              ;   in Loop: Header=BB0_282 Depth=3
	s_or_b64 exec, exec, s[18:19]
	v_and_b32_sdwa v27, v54, s62 dst_sel:DWORD dst_unused:UNUSED_PAD src0_sel:WORD_1 src1_sel:DWORD
	v_lshrrev_b32_e32 v26, 16, v54
	v_cmp_ne_u16_e32 vcc, 0, v27
	v_mov_b32_e32 v2, 0
	s_and_saveexec_b64 s[18:19], vcc
	s_cbranch_execz .LBB0_346
; %bb.339:                              ;   in Loop: Header=BB0_282 Depth=3
	v_cmp_ne_u16_e32 vcc, s66, v27
	v_bfrev_b32_e32 v2, 1
	s_and_saveexec_b64 s[48:49], vcc
	s_cbranch_execz .LBB0_345
; %bb.340:                              ;   in Loop: Header=BB0_282 Depth=3
	v_and_b32_e32 v2, 0x7c0000, v54
	v_bfe_u32 v27, v54, 16, 2
	v_cmp_ne_u32_e32 vcc, s69, v2
                                        ; implicit-def: $vgpr2
	s_and_saveexec_b64 s[50:51], vcc
	s_xor_b64 s[50:51], exec, s[50:51]
	s_cbranch_execz .LBB0_342
; %bb.341:                              ;   in Loop: Header=BB0_282 Depth=3
	v_ffbh_u32_e32 v36, v27
	v_min_u32_e32 v38, 32, v36
	v_lshrrev_b32_e32 v2, 16, v54
	v_bfe_u32 v26, v54, 18, 5
	v_subrev_u32_e32 v36, 29, v38
	v_lshlrev_b64 v[36:37], v36, v[2:3]
	v_sub_u32_e32 v2, 30, v38
	v_cmp_eq_u32_e32 vcc, 0, v26
	v_and_b32_e32 v36, 3, v36
	v_cndmask_b32_e32 v2, v26, v2, vcc
	v_cndmask_b32_e32 v26, v27, v36, vcc
	v_lshlrev_b32_e32 v27, 8, v54
	v_lshl_add_u32 v2, v2, 23, v7
	v_and_or_b32 v2, v27, s65, v2
	v_lshl_or_b32 v2, v26, 21, v2
                                        ; implicit-def: $vgpr27
                                        ; implicit-def: $vgpr26
.LBB0_342:                              ;   in Loop: Header=BB0_282 Depth=3
	s_andn2_saveexec_b64 s[50:51], s[50:51]
; %bb.343:                              ;   in Loop: Header=BB0_282 Depth=3
	v_cmp_gt_i16_sdwa vcc, sext(v26), v47 src0_sel:BYTE_0 src1_sel:DWORD
	v_cndmask_b32_e32 v2, v24, v25, vcc
	v_cmp_eq_u32_e32 vcc, 0, v27
	v_cndmask_b32_e32 v2, v6, v2, vcc
; %bb.344:                              ;   in Loop: Header=BB0_282 Depth=3
	s_or_b64 exec, exec, s[50:51]
.LBB0_345:                              ;   in Loop: Header=BB0_282 Depth=3
	s_or_b64 exec, exec, s[48:49]
.LBB0_346:                              ;   in Loop: Header=BB0_282 Depth=3
	s_or_b64 exec, exec, s[18:19]
	v_mul_f32_e32 v27, v62, v2
	v_and_b32_sdwa v26, v27, s66 dst_sel:DWORD dst_unused:UNUSED_PAD src0_sel:BYTE_3 src1_sel:DWORD
	v_and_b32_e32 v36, 0x7f800000, v27
	v_mov_b32_e32 v37, v55
	v_and_b32_e32 v40, 0x7fffff, v27
	v_mov_b32_e32 v41, v55
	v_or_b32_e32 v2, 0x7b, v26
	v_cmp_ne_u64_e32 vcc, s[38:39], v[36:37]
	s_and_saveexec_b64 s[18:19], vcc
	s_xor_b64 s[48:49], exec, s[18:19]
	s_cbranch_execz .LBB0_356
; %bb.347:                              ;   in Loop: Header=BB0_282 Depth=3
	v_and_b32_e32 v36, 0x7fffffff, v27
	v_mov_b32_e32 v37, v55
	v_cmp_gt_u64_e32 vcc, s[40:41], v[36:37]
	s_and_saveexec_b64 s[50:51], vcc
	s_cbranch_execz .LBB0_355
; %bb.348:                              ;   in Loop: Header=BB0_282 Depth=3
	v_cmp_ne_u32_e32 vcc, 0, v27
	v_mov_b32_e32 v2, 0
	s_and_saveexec_b64 s[52:53], vcc
	s_cbranch_execz .LBB0_354
; %bb.349:                              ;   in Loop: Header=BB0_282 Depth=3
	v_bfe_u32 v2, v27, 23, 8
	v_sub_u32_e32 v36, 0x71, v2
	v_cmp_gt_u32_e32 vcc, s67, v2
	v_add_u32_e32 v27, 0xffffff81, v2
	v_cndmask_b32_e32 v36, 0, v36, vcc
	v_cmp_eq_u32_e32 vcc, 0, v2
	v_cndmask_b32_e32 v2, v27, v48, vcc
	v_cndmask_b32_e32 v27, v36, v49, vcc
	v_or_b32_e32 v37, 0x800000, v40
	v_add_u32_e32 v36, 21, v27
	v_cndmask_b32_e32 v40, v37, v40, vcc
	v_lshlrev_b64 v[36:37], v36, -1
	v_not_b32_e32 v36, v36
	v_and_b32_e32 v50, v40, v36
	v_add_u32_e32 v36, 20, v27
	v_lshrrev_b64 v[40:41], v27, v[40:41]
	v_not_b32_e32 v37, v37
	v_lshlrev_b64 v[38:39], v36, 1
	v_lshrrev_b32_e32 v36, 23, v40
	v_and_b32_e32 v51, 0, v37
	v_add3_u32 v36, v27, v2, v36
	v_bfe_u32 v2, v40, 21, 1
	v_add_u32_e32 v2, -1, v2
	v_cmp_eq_u64_e32 vcc, v[50:51], v[38:39]
	v_cndmask_b32_e32 v2, 0, v2, vcc
	v_add_u32_e32 v2, v2, v40
	v_and_b32_e32 v2, 0x1fffff, v2
	v_add_co_u32_e32 v40, vcc, v2, v40
	v_add_u32_e32 v27, 14, v36
	v_addc_co_u32_e32 v41, vcc, 0, v41, vcc
	v_cmp_ne_u32_e32 vcc, 0, v27
                                        ; implicit-def: $vgpr2
	s_and_saveexec_b64 s[18:19], vcc
	s_xor_b64 s[18:19], exec, s[18:19]
; %bb.350:                              ;   in Loop: Header=BB0_282 Depth=3
	v_add_u32_e32 v2, 15, v36
	v_cmp_lt_u64_e32 vcc, s[42:43], v[40:41]
	v_cndmask_b32_e32 v2, v27, v2, vcc
	v_cndmask_b32_e64 v27, 0, 1, vcc
	v_lshrrev_b64 v[40:41], v27, v[40:41]
; %bb.351:                              ;   in Loop: Header=BB0_282 Depth=3
	s_andn2_saveexec_b64 s[18:19], s[18:19]
; %bb.352:                              ;   in Loop: Header=BB0_282 Depth=3
	v_bfe_u32 v2, v40, 23, 1
; %bb.353:                              ;   in Loop: Header=BB0_282 Depth=3
	s_or_b64 exec, exec, s[18:19]
	v_lshrrev_b64 v[36:37], 21, v[40:41]
	v_cmp_gt_i32_e32 vcc, 32, v2
	v_cndmask_b32_e32 v37, 0, v37, vcc
	v_cndmask_b32_e32 v36, 3, v36, vcc
	v_cmp_eq_u32_e32 vcc, 0, v2
	v_min_i32_e32 v2, 31, v2
	v_cmp_eq_u64_e64 s[18:19], 0, v[36:37]
	v_lshlrev_b32_e32 v2, 2, v2
	v_and_or_b32 v2, v36, 3, v2
	s_and_b64 s[18:19], vcc, s[18:19]
	v_cndmask_b32_e64 v2, v2, 0, s[18:19]
	v_or_b32_e32 v2, v2, v26
.LBB0_354:                              ;   in Loop: Header=BB0_282 Depth=3
	s_or_b64 exec, exec, s[52:53]
.LBB0_355:                              ;   in Loop: Header=BB0_282 Depth=3
	s_or_b64 exec, exec, s[50:51]
                                        ; implicit-def: $vgpr27
                                        ; implicit-def: $vgpr40_vgpr41
.LBB0_356:                              ;   in Loop: Header=BB0_282 Depth=3
	s_andn2_saveexec_b64 s[18:19], s[48:49]
; %bb.357:                              ;   in Loop: Header=BB0_282 Depth=3
	v_or_b32_sdwa v26, v27, s68 dst_sel:DWORD dst_unused:UNUSED_PAD src0_sel:BYTE_3 src1_sel:DWORD
	v_cmp_eq_u64_e32 vcc, 0, v[40:41]
	v_cndmask_b32_e32 v2, v26, v2, vcc
; %bb.358:                              ;   in Loop: Header=BB0_282 Depth=3
	s_or_b64 exec, exec, s[18:19]
	v_cmp_lt_u32_e32 vcc, s37, v54
	v_mov_b32_e32 v26, 0
	s_and_saveexec_b64 s[18:19], vcc
	s_cbranch_execz .LBB0_366
; %bb.359:                              ;   in Loop: Header=BB0_282 Depth=3
	v_lshrrev_b32_e32 v40, 24, v54
	v_cmp_ne_u32_e32 vcc, s66, v40
	v_bfrev_b32_e32 v26, 1
	s_and_saveexec_b64 s[48:49], vcc
	s_cbranch_execz .LBB0_365
; %bb.360:                              ;   in Loop: Header=BB0_282 Depth=3
	v_and_b32_e32 v26, 0x7c000000, v54
	v_bfe_u32 v27, v54, 24, 2
	v_cmp_ne_u32_e32 vcc, s70, v26
                                        ; implicit-def: $vgpr26
	s_and_saveexec_b64 s[50:51], vcc
	s_xor_b64 s[50:51], exec, s[50:51]
	s_cbranch_execz .LBB0_362
; %bb.361:                              ;   in Loop: Header=BB0_282 Depth=3
	v_ffbh_u32_e32 v36, v27
	v_min_u32_e32 v38, 32, v36
	v_subrev_u32_e32 v36, 29, v38
	v_bfe_u32 v26, v54, 26, 5
	v_lshlrev_b64 v[36:37], v36, v[40:41]
	v_sub_u32_e32 v37, 30, v38
	v_cmp_eq_u32_e32 vcc, 0, v26
	v_cndmask_b32_e32 v26, v26, v37, vcc
	v_and_b32_e32 v36, 3, v36
	v_lshl_add_u32 v26, v26, 23, v7
	v_cndmask_b32_e32 v27, v27, v36, vcc
	v_and_or_b32 v26, v54, s65, v26
	v_lshl_or_b32 v26, v27, 21, v26
                                        ; implicit-def: $vgpr27
.LBB0_362:                              ;   in Loop: Header=BB0_282 Depth=3
	s_andn2_saveexec_b64 s[50:51], s[50:51]
; %bb.363:                              ;   in Loop: Header=BB0_282 Depth=3
	v_cmp_lt_i32_e32 vcc, -1, v54
	v_cndmask_b32_e32 v26, v24, v25, vcc
	v_cmp_eq_u32_e32 vcc, 0, v27
	v_cndmask_b32_e32 v26, v6, v26, vcc
; %bb.364:                              ;   in Loop: Header=BB0_282 Depth=3
	s_or_b64 exec, exec, s[50:51]
.LBB0_365:                              ;   in Loop: Header=BB0_282 Depth=3
	s_or_b64 exec, exec, s[48:49]
.LBB0_366:                              ;   in Loop: Header=BB0_282 Depth=3
	s_or_b64 exec, exec, s[18:19]
	v_mul_f32_e32 v36, v62, v26
	v_and_b32_sdwa v26, v36, s66 dst_sel:DWORD dst_unused:UNUSED_PAD src0_sel:BYTE_3 src1_sel:DWORD
	v_and_b32_e32 v38, 0x7f800000, v36
	v_mov_b32_e32 v39, v55
	v_and_b32_e32 v54, 0x7fffff, v36
	v_or_b32_e32 v27, 0x7b, v26
	v_cmp_ne_u64_e32 vcc, s[38:39], v[38:39]
	s_and_saveexec_b64 s[18:19], vcc
	s_xor_b64 s[48:49], exec, s[18:19]
	s_cbranch_execz .LBB0_376
; %bb.367:                              ;   in Loop: Header=BB0_282 Depth=3
	v_and_b32_e32 v38, 0x7fffffff, v36
	v_mov_b32_e32 v39, v55
	v_cmp_gt_u64_e32 vcc, s[40:41], v[38:39]
	s_and_saveexec_b64 s[50:51], vcc
	s_cbranch_execz .LBB0_375
; %bb.368:                              ;   in Loop: Header=BB0_282 Depth=3
	v_cmp_ne_u32_e32 vcc, 0, v36
	v_mov_b32_e32 v27, 0
	s_and_saveexec_b64 s[52:53], vcc
	s_cbranch_execz .LBB0_374
; %bb.369:                              ;   in Loop: Header=BB0_282 Depth=3
	v_bfe_u32 v27, v36, 23, 8
	v_sub_u32_e32 v37, 0x71, v27
	v_cmp_gt_u32_e32 vcc, s67, v27
	v_cndmask_b32_e32 v37, 0, v37, vcc
	v_cmp_eq_u32_e32 vcc, 0, v27
	v_cndmask_b32_e32 v12, v37, v49, vcc
	v_add_u32_e32 v36, 0xffffff81, v27
	v_add_u32_e32 v13, 21, v12
	v_or_b32_e32 v38, 0x800000, v54
	v_cndmask_b32_e32 v27, v36, v48, vcc
	v_lshlrev_b64 v[36:37], v13, -1
	v_cndmask_b32_e32 v54, v38, v54, vcc
	v_not_b32_e32 v13, v37
	v_and_b32_e32 v39, 0, v13
	v_add_u32_e32 v13, 20, v12
	v_lshrrev_b64 v[40:41], v12, v[54:55]
	v_not_b32_e32 v14, v36
	v_lshlrev_b64 v[50:51], v13, 1
	v_lshrrev_b32_e32 v13, 23, v40
	v_and_b32_e32 v38, v54, v14
	v_add3_u32 v37, v12, v27, v13
	v_bfe_u32 v12, v40, 21, 1
	v_add_u32_e32 v12, -1, v12
	v_cmp_eq_u64_e32 vcc, v[38:39], v[50:51]
	v_cndmask_b32_e32 v12, 0, v12, vcc
	v_add_u32_e32 v12, v12, v40
	v_and_b32_e32 v12, 0x1fffff, v12
	v_add_co_u32_e32 v40, vcc, v12, v40
	v_add_u32_e32 v36, 14, v37
	v_addc_co_u32_e32 v41, vcc, 0, v41, vcc
	v_cmp_ne_u32_e32 vcc, 0, v36
                                        ; implicit-def: $vgpr27
	s_and_saveexec_b64 s[18:19], vcc
	s_xor_b64 s[18:19], exec, s[18:19]
; %bb.370:                              ;   in Loop: Header=BB0_282 Depth=3
	v_add_u32_e32 v12, 15, v37
	v_cmp_lt_u64_e32 vcc, s[42:43], v[40:41]
	v_cndmask_b32_e32 v27, v36, v12, vcc
	v_cndmask_b32_e64 v12, 0, 1, vcc
	v_lshrrev_b64 v[40:41], v12, v[40:41]
; %bb.371:                              ;   in Loop: Header=BB0_282 Depth=3
	s_andn2_saveexec_b64 s[18:19], s[18:19]
; %bb.372:                              ;   in Loop: Header=BB0_282 Depth=3
	v_bfe_u32 v27, v40, 23, 1
; %bb.373:                              ;   in Loop: Header=BB0_282 Depth=3
	s_or_b64 exec, exec, s[18:19]
	v_lshrrev_b64 v[36:37], 21, v[40:41]
	v_cmp_gt_i32_e32 vcc, 32, v27
	v_cndmask_b32_e32 v37, 0, v37, vcc
	v_cndmask_b32_e32 v36, 3, v36, vcc
	v_min_i32_e32 v12, 31, v27
	v_cmp_eq_u32_e32 vcc, 0, v27
	v_cmp_eq_u64_e64 s[18:19], 0, v[36:37]
	v_lshlrev_b32_e32 v12, 2, v12
	v_and_or_b32 v12, v36, 3, v12
	s_and_b64 s[18:19], vcc, s[18:19]
	v_cndmask_b32_e64 v12, v12, 0, s[18:19]
	v_or_b32_e32 v27, v12, v26
.LBB0_374:                              ;   in Loop: Header=BB0_282 Depth=3
	s_or_b64 exec, exec, s[52:53]
.LBB0_375:                              ;   in Loop: Header=BB0_282 Depth=3
	s_or_b64 exec, exec, s[50:51]
                                        ; implicit-def: $vgpr36
.LBB0_376:                              ;   in Loop: Header=BB0_282 Depth=3
	s_andn2_saveexec_b64 s[18:19], s[48:49]
; %bb.377:                              ;   in Loop: Header=BB0_282 Depth=3
	v_or_b32_sdwa v26, v36, s68 dst_sel:DWORD dst_unused:UNUSED_PAD src0_sel:BYTE_3 src1_sel:DWORD
	v_cmp_eq_u64_e32 vcc, 0, v[54:55]
	v_cndmask_b32_e32 v27, v26, v27, vcc
; %bb.378:                              ;   in Loop: Header=BB0_282 Depth=3
	s_or_b64 exec, exec, s[18:19]
	v_alignbit_b32 v54, v22, v23, v1
	v_cmp_ne_u16_sdwa vcc, v54, v55 src0_sel:BYTE_0 src1_sel:DWORD
	v_mov_b32_e32 v1, 0
	s_and_saveexec_b64 s[18:19], vcc
	s_cbranch_execz .LBB0_386
; %bb.379:                              ;   in Loop: Header=BB0_282 Depth=3
	v_cmp_ne_u16_sdwa vcc, sext(v54), s63 src0_sel:BYTE_0 src1_sel:DWORD
	v_bfrev_b32_e32 v1, 1
	s_and_saveexec_b64 s[48:49], vcc
	s_cbranch_execz .LBB0_385
; %bb.380:                              ;   in Loop: Header=BB0_282 Depth=3
	v_and_b32_e32 v1, 0x7c, v54
	v_and_b32_e32 v22, 3, v54
	v_cmp_ne_u32_e32 vcc, s64, v1
                                        ; implicit-def: $vgpr1
	s_and_saveexec_b64 s[50:51], vcc
	s_xor_b64 s[50:51], exec, s[50:51]
	s_cbranch_execz .LBB0_382
; %bb.381:                              ;   in Loop: Header=BB0_282 Depth=3
	v_ffbh_u32_e32 v12, v22
	v_min_u32_e32 v12, 32, v12
	v_bfe_u32 v1, v54, 2, 5
	v_subrev_u32_e32 v13, 29, v12
	v_lshlrev_b64 v[36:37], v13, v[54:55]
	v_sub_u32_e32 v12, 30, v12
	v_cmp_eq_u32_e32 vcc, 0, v1
	v_and_b32_e32 v13, 3, v36
	v_cndmask_b32_e32 v1, v1, v12, vcc
	v_cndmask_b32_e32 v12, v22, v13, vcc
	v_lshlrev_b32_e32 v13, 24, v54
	v_lshl_add_u32 v1, v1, 23, v7
	v_and_or_b32 v1, v13, s65, v1
	v_lshl_or_b32 v1, v12, 21, v1
                                        ; implicit-def: $vgpr22
.LBB0_382:                              ;   in Loop: Header=BB0_282 Depth=3
	s_andn2_saveexec_b64 s[50:51], s[50:51]
; %bb.383:                              ;   in Loop: Header=BB0_282 Depth=3
	v_cmp_gt_i16_sdwa vcc, sext(v54), v47 src0_sel:BYTE_0 src1_sel:DWORD
	v_cndmask_b32_e32 v1, v24, v25, vcc
	v_cmp_eq_u32_e32 vcc, 0, v22
	v_cndmask_b32_e32 v1, v6, v1, vcc
; %bb.384:                              ;   in Loop: Header=BB0_282 Depth=3
	s_or_b64 exec, exec, s[50:51]
.LBB0_385:                              ;   in Loop: Header=BB0_282 Depth=3
	s_or_b64 exec, exec, s[48:49]
.LBB0_386:                              ;   in Loop: Header=BB0_282 Depth=3
	s_or_b64 exec, exec, s[18:19]
	v_mul_f32_e32 v22, v62, v1
	v_and_b32_sdwa v1, v22, s66 dst_sel:DWORD dst_unused:UNUSED_PAD src0_sel:BYTE_3 src1_sel:DWORD
	v_and_b32_e32 v36, 0x7f800000, v22
	v_mov_b32_e32 v37, v55
	v_and_b32_e32 v40, 0x7fffff, v22
	v_mov_b32_e32 v41, v55
	v_or_b32_e32 v26, 0x7b, v1
	v_cmp_ne_u64_e32 vcc, s[38:39], v[36:37]
	s_and_saveexec_b64 s[18:19], vcc
	s_xor_b64 s[48:49], exec, s[18:19]
	s_cbranch_execz .LBB0_396
; %bb.387:                              ;   in Loop: Header=BB0_282 Depth=3
	v_and_b32_e32 v36, 0x7fffffff, v22
	v_mov_b32_e32 v37, v55
	v_cmp_gt_u64_e32 vcc, s[40:41], v[36:37]
	s_and_saveexec_b64 s[50:51], vcc
	s_cbranch_execz .LBB0_395
; %bb.388:                              ;   in Loop: Header=BB0_282 Depth=3
	v_cmp_ne_u32_e32 vcc, 0, v22
	v_mov_b32_e32 v26, 0
	s_and_saveexec_b64 s[52:53], vcc
	s_cbranch_execz .LBB0_394
; %bb.389:                              ;   in Loop: Header=BB0_282 Depth=3
	v_bfe_u32 v12, v22, 23, 8
	v_sub_u32_e32 v14, 0x71, v12
	v_cmp_gt_u32_e32 vcc, s67, v12
	v_add_u32_e32 v13, 0xffffff81, v12
	v_cndmask_b32_e32 v14, 0, v14, vcc
	v_cmp_eq_u32_e32 vcc, 0, v12
	v_cndmask_b32_e32 v12, v13, v48, vcc
	v_cndmask_b32_e32 v13, v14, v49, vcc
	v_add_u32_e32 v14, 21, v13
	v_or_b32_e32 v15, 0x800000, v40
	v_lshlrev_b64 v[22:23], v14, -1
	v_cndmask_b32_e32 v40, v15, v40, vcc
	v_not_b32_e32 v14, v23
	v_and_b32_e32 v37, 0, v14
	v_add_u32_e32 v14, 20, v13
	v_lshrrev_b64 v[50:51], v13, v[40:41]
	v_not_b32_e32 v15, v22
	v_lshlrev_b64 v[38:39], v14, 1
	v_lshrrev_b32_e32 v14, 23, v50
	v_and_b32_e32 v36, v40, v15
	v_add3_u32 v26, v13, v12, v14
	v_bfe_u32 v12, v50, 21, 1
	v_add_u32_e32 v12, -1, v12
	v_cmp_eq_u64_e32 vcc, v[36:37], v[38:39]
	v_cndmask_b32_e32 v12, 0, v12, vcc
	v_add_u32_e32 v12, v12, v50
	v_and_b32_e32 v12, 0x1fffff, v12
	v_add_co_u32_e32 v40, vcc, v12, v50
	v_add_u32_e32 v23, 14, v26
	v_addc_co_u32_e32 v41, vcc, 0, v51, vcc
	v_cmp_ne_u32_e32 vcc, 0, v23
                                        ; implicit-def: $vgpr22
	s_and_saveexec_b64 s[18:19], vcc
	s_xor_b64 s[18:19], exec, s[18:19]
; %bb.390:                              ;   in Loop: Header=BB0_282 Depth=3
	v_add_u32_e32 v12, 15, v26
	v_cmp_lt_u64_e32 vcc, s[42:43], v[40:41]
	v_cndmask_b32_e32 v22, v23, v12, vcc
	v_cndmask_b32_e64 v12, 0, 1, vcc
	v_lshrrev_b64 v[40:41], v12, v[40:41]
; %bb.391:                              ;   in Loop: Header=BB0_282 Depth=3
	s_andn2_saveexec_b64 s[18:19], s[18:19]
; %bb.392:                              ;   in Loop: Header=BB0_282 Depth=3
	v_bfe_u32 v22, v40, 23, 1
; %bb.393:                              ;   in Loop: Header=BB0_282 Depth=3
	s_or_b64 exec, exec, s[18:19]
	v_lshrrev_b64 v[36:37], 21, v[40:41]
	v_cmp_gt_i32_e32 vcc, 32, v22
	v_cndmask_b32_e32 v37, 0, v37, vcc
	v_cndmask_b32_e32 v36, 3, v36, vcc
	v_min_i32_e32 v12, 31, v22
	v_cmp_eq_u32_e32 vcc, 0, v22
	v_cmp_eq_u64_e64 s[18:19], 0, v[36:37]
	v_lshlrev_b32_e32 v12, 2, v12
	v_and_or_b32 v12, v36, 3, v12
	s_and_b64 s[18:19], vcc, s[18:19]
	v_cndmask_b32_e64 v12, v12, 0, s[18:19]
	v_or_b32_e32 v26, v12, v1
.LBB0_394:                              ;   in Loop: Header=BB0_282 Depth=3
	s_or_b64 exec, exec, s[52:53]
.LBB0_395:                              ;   in Loop: Header=BB0_282 Depth=3
	s_or_b64 exec, exec, s[50:51]
                                        ; implicit-def: $vgpr22
                                        ; implicit-def: $vgpr40_vgpr41
.LBB0_396:                              ;   in Loop: Header=BB0_282 Depth=3
	s_andn2_saveexec_b64 s[18:19], s[48:49]
; %bb.397:                              ;   in Loop: Header=BB0_282 Depth=3
	v_or_b32_sdwa v1, v22, s68 dst_sel:DWORD dst_unused:UNUSED_PAD src0_sel:BYTE_3 src1_sel:DWORD
	v_cmp_eq_u64_e32 vcc, 0, v[40:41]
	v_cndmask_b32_e32 v26, v1, v26, vcc
; %bb.398:                              ;   in Loop: Header=BB0_282 Depth=3
	s_or_b64 exec, exec, s[18:19]
	v_lshrrev_b16_e32 v40, 8, v54
	v_cmp_ne_u16_e32 vcc, 0, v40
	v_mov_b32_e32 v1, 0
	s_and_saveexec_b64 s[18:19], vcc
	s_cbranch_execz .LBB0_406
; %bb.399:                              ;   in Loop: Header=BB0_282 Depth=3
	v_cmp_ne_u16_e32 vcc, s66, v40
	v_bfrev_b32_e32 v1, 1
	s_and_saveexec_b64 s[48:49], vcc
	s_cbranch_execz .LBB0_405
; %bb.400:                              ;   in Loop: Header=BB0_282 Depth=3
	v_and_b32_e32 v1, 0x7c, v40
	v_and_b32_e32 v22, 3, v40
	v_cmp_ne_u32_e32 vcc, s64, v1
                                        ; implicit-def: $vgpr1
	s_and_saveexec_b64 s[50:51], vcc
	s_xor_b64 s[50:51], exec, s[50:51]
	s_cbranch_execz .LBB0_402
; %bb.401:                              ;   in Loop: Header=BB0_282 Depth=3
	v_ffbh_u32_e32 v12, v22
	v_min_u32_e32 v12, 32, v12
	v_mov_b32_e32 v41, v55
	v_bfe_u32 v1, v40, 2, 5
	v_subrev_u32_e32 v13, 29, v12
	v_lshlrev_b64 v[36:37], v13, v[40:41]
	v_sub_u32_e32 v12, 30, v12
	v_cmp_eq_u32_e32 vcc, 0, v1
	v_and_b32_e32 v13, 3, v36
	v_cndmask_b32_e32 v1, v1, v12, vcc
	v_cndmask_b32_e32 v12, v22, v13, vcc
	v_lshlrev_b32_e32 v13, 16, v54
	v_lshl_add_u32 v1, v1, 23, v7
	v_and_or_b32 v1, v13, s65, v1
	v_lshl_or_b32 v1, v12, 21, v1
                                        ; implicit-def: $vgpr22
.LBB0_402:                              ;   in Loop: Header=BB0_282 Depth=3
	s_andn2_saveexec_b64 s[50:51], s[50:51]
; %bb.403:                              ;   in Loop: Header=BB0_282 Depth=3
	v_cmp_lt_i16_e32 vcc, -1, v54
	v_cndmask_b32_e32 v1, v24, v25, vcc
	v_cmp_eq_u32_e32 vcc, 0, v22
	v_cndmask_b32_e32 v1, v6, v1, vcc
; %bb.404:                              ;   in Loop: Header=BB0_282 Depth=3
	s_or_b64 exec, exec, s[50:51]
.LBB0_405:                              ;   in Loop: Header=BB0_282 Depth=3
	s_or_b64 exec, exec, s[48:49]
.LBB0_406:                              ;   in Loop: Header=BB0_282 Depth=3
	s_or_b64 exec, exec, s[18:19]
	v_mul_f32_e32 v23, v62, v1
	v_and_b32_sdwa v1, v23, s66 dst_sel:DWORD dst_unused:UNUSED_PAD src0_sel:BYTE_3 src1_sel:DWORD
	v_and_b32_e32 v36, 0x7f800000, v23
	v_mov_b32_e32 v37, v55
	v_and_b32_e32 v40, 0x7fffff, v23
	v_mov_b32_e32 v41, v55
	v_or_b32_e32 v22, 0x7b, v1
	v_cmp_ne_u64_e32 vcc, s[38:39], v[36:37]
	s_and_saveexec_b64 s[18:19], vcc
	s_xor_b64 s[48:49], exec, s[18:19]
	s_cbranch_execz .LBB0_416
; %bb.407:                              ;   in Loop: Header=BB0_282 Depth=3
	v_and_b32_e32 v36, 0x7fffffff, v23
	v_mov_b32_e32 v37, v55
	v_cmp_gt_u64_e32 vcc, s[40:41], v[36:37]
	s_and_saveexec_b64 s[50:51], vcc
	s_cbranch_execz .LBB0_415
; %bb.408:                              ;   in Loop: Header=BB0_282 Depth=3
	v_cmp_ne_u32_e32 vcc, 0, v23
	v_mov_b32_e32 v22, 0
	s_and_saveexec_b64 s[52:53], vcc
	s_cbranch_execz .LBB0_414
; %bb.409:                              ;   in Loop: Header=BB0_282 Depth=3
	v_bfe_u32 v12, v23, 23, 8
	v_sub_u32_e32 v14, 0x71, v12
	v_cmp_gt_u32_e32 vcc, s67, v12
	v_add_u32_e32 v13, 0xffffff81, v12
	v_cndmask_b32_e32 v14, 0, v14, vcc
	v_cmp_eq_u32_e32 vcc, 0, v12
	v_cndmask_b32_e32 v12, v13, v48, vcc
	v_cndmask_b32_e32 v13, v14, v49, vcc
	v_add_u32_e32 v14, 21, v13
	v_or_b32_e32 v15, 0x800000, v40
	v_lshlrev_b64 v[22:23], v14, -1
	v_cndmask_b32_e32 v40, v15, v40, vcc
	v_not_b32_e32 v14, v23
	v_not_b32_e32 v15, v22
	v_and_b32_e32 v39, 0, v14
	v_and_b32_e32 v38, v40, v15
	v_add_u32_e32 v14, 20, v13
	v_lshrrev_b64 v[40:41], v13, v[40:41]
	v_lshlrev_b64 v[50:51], v14, 1
	v_lshrrev_b32_e32 v14, 23, v40
	v_add3_u32 v36, v13, v12, v14
	v_bfe_u32 v12, v40, 21, 1
	v_add_u32_e32 v12, -1, v12
	v_cmp_eq_u64_e32 vcc, v[38:39], v[50:51]
	v_cndmask_b32_e32 v12, 0, v12, vcc
	v_add_u32_e32 v12, v12, v40
	v_and_b32_e32 v12, 0x1fffff, v12
	v_add_co_u32_e32 v40, vcc, v12, v40
	v_add_u32_e32 v23, 14, v36
	v_addc_co_u32_e32 v41, vcc, 0, v41, vcc
	v_cmp_ne_u32_e32 vcc, 0, v23
                                        ; implicit-def: $vgpr22
	s_and_saveexec_b64 s[18:19], vcc
	s_xor_b64 s[18:19], exec, s[18:19]
; %bb.410:                              ;   in Loop: Header=BB0_282 Depth=3
	v_add_u32_e32 v12, 15, v36
	v_cmp_lt_u64_e32 vcc, s[42:43], v[40:41]
	v_cndmask_b32_e32 v22, v23, v12, vcc
	v_cndmask_b32_e64 v12, 0, 1, vcc
	v_lshrrev_b64 v[40:41], v12, v[40:41]
; %bb.411:                              ;   in Loop: Header=BB0_282 Depth=3
	s_andn2_saveexec_b64 s[18:19], s[18:19]
; %bb.412:                              ;   in Loop: Header=BB0_282 Depth=3
	v_bfe_u32 v22, v40, 23, 1
; %bb.413:                              ;   in Loop: Header=BB0_282 Depth=3
	s_or_b64 exec, exec, s[18:19]
	v_lshrrev_b64 v[36:37], 21, v[40:41]
	v_cmp_gt_i32_e32 vcc, 32, v22
	v_cndmask_b32_e32 v37, 0, v37, vcc
	v_cndmask_b32_e32 v36, 3, v36, vcc
	v_min_i32_e32 v12, 31, v22
	v_cmp_eq_u32_e32 vcc, 0, v22
	v_cmp_eq_u64_e64 s[18:19], 0, v[36:37]
	v_lshlrev_b32_e32 v12, 2, v12
	v_and_or_b32 v12, v36, 3, v12
	s_and_b64 s[18:19], vcc, s[18:19]
	v_cndmask_b32_e64 v12, v12, 0, s[18:19]
	v_or_b32_e32 v22, v12, v1
.LBB0_414:                              ;   in Loop: Header=BB0_282 Depth=3
	s_or_b64 exec, exec, s[52:53]
.LBB0_415:                              ;   in Loop: Header=BB0_282 Depth=3
	s_or_b64 exec, exec, s[50:51]
                                        ; implicit-def: $vgpr23
                                        ; implicit-def: $vgpr40_vgpr41
.LBB0_416:                              ;   in Loop: Header=BB0_282 Depth=3
	s_andn2_saveexec_b64 s[18:19], s[48:49]
; %bb.417:                              ;   in Loop: Header=BB0_282 Depth=3
	v_or_b32_sdwa v1, v23, s68 dst_sel:DWORD dst_unused:UNUSED_PAD src0_sel:BYTE_3 src1_sel:DWORD
	v_cmp_eq_u64_e32 vcc, 0, v[40:41]
	v_cndmask_b32_e32 v22, v1, v22, vcc
; %bb.418:                              ;   in Loop: Header=BB0_282 Depth=3
	s_or_b64 exec, exec, s[18:19]
	v_and_b32_sdwa v23, v54, s62 dst_sel:DWORD dst_unused:UNUSED_PAD src0_sel:WORD_1 src1_sel:DWORD
	v_lshrrev_b32_e32 v40, 16, v54
	v_cmp_ne_u16_e32 vcc, 0, v23
	v_mov_b32_e32 v1, 0
	s_and_saveexec_b64 s[18:19], vcc
	s_cbranch_execz .LBB0_426
; %bb.419:                              ;   in Loop: Header=BB0_282 Depth=3
	v_cmp_ne_u16_e32 vcc, s66, v23
	v_bfrev_b32_e32 v1, 1
	s_and_saveexec_b64 s[48:49], vcc
	s_cbranch_execz .LBB0_425
; %bb.420:                              ;   in Loop: Header=BB0_282 Depth=3
	v_and_b32_e32 v1, 0x7c0000, v54
	v_bfe_u32 v23, v54, 16, 2
	v_cmp_ne_u32_e32 vcc, s69, v1
                                        ; implicit-def: $vgpr1
	s_and_saveexec_b64 s[50:51], vcc
	s_xor_b64 s[50:51], exec, s[50:51]
	s_cbranch_execz .LBB0_422
; %bb.421:                              ;   in Loop: Header=BB0_282 Depth=3
	v_ffbh_u32_e32 v12, v23
	v_min_u32_e32 v12, 32, v12
	v_bfe_u32 v1, v54, 18, 5
	v_subrev_u32_e32 v13, 29, v12
	v_lshlrev_b64 v[36:37], v13, v[40:41]
	v_sub_u32_e32 v12, 30, v12
	v_cmp_eq_u32_e32 vcc, 0, v1
	v_and_b32_e32 v13, 3, v36
	v_cndmask_b32_e32 v1, v1, v12, vcc
	v_cndmask_b32_e32 v12, v23, v13, vcc
	v_lshlrev_b32_e32 v13, 8, v54
	v_lshl_add_u32 v1, v1, 23, v7
	v_and_or_b32 v1, v13, s65, v1
	v_lshl_or_b32 v1, v12, 21, v1
                                        ; implicit-def: $vgpr23
                                        ; implicit-def: $vgpr40
.LBB0_422:                              ;   in Loop: Header=BB0_282 Depth=3
	s_andn2_saveexec_b64 s[50:51], s[50:51]
; %bb.423:                              ;   in Loop: Header=BB0_282 Depth=3
	v_cmp_gt_i16_sdwa vcc, sext(v40), v47 src0_sel:BYTE_0 src1_sel:DWORD
	v_cndmask_b32_e32 v1, v24, v25, vcc
	v_cmp_eq_u32_e32 vcc, 0, v23
	v_cndmask_b32_e32 v1, v6, v1, vcc
; %bb.424:                              ;   in Loop: Header=BB0_282 Depth=3
	s_or_b64 exec, exec, s[50:51]
.LBB0_425:                              ;   in Loop: Header=BB0_282 Depth=3
	s_or_b64 exec, exec, s[48:49]
.LBB0_426:                              ;   in Loop: Header=BB0_282 Depth=3
	s_or_b64 exec, exec, s[18:19]
	v_mul_f32_e32 v36, v62, v1
	v_and_b32_sdwa v23, v36, s66 dst_sel:DWORD dst_unused:UNUSED_PAD src0_sel:BYTE_3 src1_sel:DWORD
	v_and_b32_e32 v38, 0x7f800000, v36
	v_mov_b32_e32 v39, v55
	v_and_b32_e32 v40, 0x7fffff, v36
	v_mov_b32_e32 v41, v55
	v_or_b32_e32 v1, 0x7b, v23
	v_cmp_ne_u64_e32 vcc, s[38:39], v[38:39]
	s_and_saveexec_b64 s[18:19], vcc
	s_xor_b64 s[48:49], exec, s[18:19]
	s_cbranch_execz .LBB0_436
; %bb.427:                              ;   in Loop: Header=BB0_282 Depth=3
	v_and_b32_e32 v38, 0x7fffffff, v36
	v_mov_b32_e32 v39, v55
	v_cmp_gt_u64_e32 vcc, s[40:41], v[38:39]
	s_and_saveexec_b64 s[50:51], vcc
	s_cbranch_execz .LBB0_435
; %bb.428:                              ;   in Loop: Header=BB0_282 Depth=3
	v_cmp_ne_u32_e32 vcc, 0, v36
	v_mov_b32_e32 v1, 0
	s_and_saveexec_b64 s[52:53], vcc
	s_cbranch_execz .LBB0_434
; %bb.429:                              ;   in Loop: Header=BB0_282 Depth=3
	v_bfe_u32 v1, v36, 23, 8
	v_sub_u32_e32 v13, 0x71, v1
	v_cmp_gt_u32_e32 vcc, s67, v1
	v_add_u32_e32 v12, 0xffffff81, v1
	v_cndmask_b32_e32 v13, 0, v13, vcc
	v_cmp_eq_u32_e32 vcc, 0, v1
	v_cndmask_b32_e32 v1, v12, v48, vcc
	v_cndmask_b32_e32 v12, v13, v49, vcc
	v_add_u32_e32 v13, 21, v12
	v_or_b32_e32 v14, 0x800000, v40
	v_lshlrev_b64 v[36:37], v13, -1
	v_cndmask_b32_e32 v40, v14, v40, vcc
	v_not_b32_e32 v13, v37
	v_not_b32_e32 v14, v36
	v_and_b32_e32 v39, 0, v13
	v_and_b32_e32 v38, v40, v14
	v_add_u32_e32 v13, 20, v12
	v_lshrrev_b64 v[40:41], v12, v[40:41]
	v_lshlrev_b64 v[50:51], v13, 1
	v_lshrrev_b32_e32 v13, 23, v40
	v_add3_u32 v37, v12, v1, v13
	v_bfe_u32 v1, v40, 21, 1
	v_add_u32_e32 v1, -1, v1
	v_cmp_eq_u64_e32 vcc, v[38:39], v[50:51]
	v_cndmask_b32_e32 v1, 0, v1, vcc
	v_add_u32_e32 v1, v1, v40
	v_and_b32_e32 v1, 0x1fffff, v1
	v_add_co_u32_e32 v40, vcc, v1, v40
	v_add_u32_e32 v36, 14, v37
	v_addc_co_u32_e32 v41, vcc, 0, v41, vcc
	v_cmp_ne_u32_e32 vcc, 0, v36
                                        ; implicit-def: $vgpr1
	s_and_saveexec_b64 s[18:19], vcc
	s_xor_b64 s[18:19], exec, s[18:19]
; %bb.430:                              ;   in Loop: Header=BB0_282 Depth=3
	v_cmp_lt_u64_e32 vcc, s[42:43], v[40:41]
	v_add_u32_e32 v1, 15, v37
	v_cndmask_b32_e64 v12, 0, 1, vcc
	v_cndmask_b32_e32 v1, v36, v1, vcc
	v_lshrrev_b64 v[40:41], v12, v[40:41]
; %bb.431:                              ;   in Loop: Header=BB0_282 Depth=3
	s_andn2_saveexec_b64 s[18:19], s[18:19]
; %bb.432:                              ;   in Loop: Header=BB0_282 Depth=3
	v_bfe_u32 v1, v40, 23, 1
; %bb.433:                              ;   in Loop: Header=BB0_282 Depth=3
	s_or_b64 exec, exec, s[18:19]
	v_lshrrev_b64 v[36:37], 21, v[40:41]
	v_cmp_gt_i32_e32 vcc, 32, v1
	v_cndmask_b32_e32 v37, 0, v37, vcc
	v_cndmask_b32_e32 v36, 3, v36, vcc
	v_cmp_eq_u32_e32 vcc, 0, v1
	v_min_i32_e32 v1, 31, v1
	v_lshlrev_b32_e32 v1, 2, v1
	v_cmp_eq_u64_e64 s[18:19], 0, v[36:37]
	v_and_b32_e32 v1, 0xfc, v1
	v_and_or_b32 v1, v36, 3, v1
	s_and_b64 s[18:19], vcc, s[18:19]
	v_cndmask_b32_e64 v1, v1, 0, s[18:19]
	v_or_b32_e32 v1, v1, v23
.LBB0_434:                              ;   in Loop: Header=BB0_282 Depth=3
	s_or_b64 exec, exec, s[52:53]
.LBB0_435:                              ;   in Loop: Header=BB0_282 Depth=3
	s_or_b64 exec, exec, s[50:51]
                                        ; implicit-def: $vgpr36
                                        ; implicit-def: $vgpr40_vgpr41
.LBB0_436:                              ;   in Loop: Header=BB0_282 Depth=3
	s_andn2_saveexec_b64 s[18:19], s[48:49]
; %bb.437:                              ;   in Loop: Header=BB0_282 Depth=3
	v_or_b32_sdwa v12, v36, s68 dst_sel:DWORD dst_unused:UNUSED_PAD src0_sel:BYTE_3 src1_sel:DWORD
	v_cmp_eq_u64_e32 vcc, 0, v[40:41]
	v_cndmask_b32_e32 v1, v12, v1, vcc
; %bb.438:                              ;   in Loop: Header=BB0_282 Depth=3
	s_or_b64 exec, exec, s[18:19]
	v_cmp_lt_u32_e32 vcc, s37, v54
	v_mov_b32_e32 v23, 0
	s_and_saveexec_b64 s[18:19], vcc
	s_cbranch_execz .LBB0_446
; %bb.439:                              ;   in Loop: Header=BB0_282 Depth=3
	v_lshrrev_b32_e32 v40, 24, v54
	v_cmp_ne_u32_e32 vcc, s66, v40
	v_bfrev_b32_e32 v23, 1
	s_and_saveexec_b64 s[48:49], vcc
	s_cbranch_execz .LBB0_445
; %bb.440:                              ;   in Loop: Header=BB0_282 Depth=3
	v_and_b32_e32 v12, 0x7c000000, v54
	v_bfe_u32 v36, v54, 24, 2
	v_cmp_ne_u32_e32 vcc, s70, v12
                                        ; implicit-def: $vgpr23
	s_and_saveexec_b64 s[50:51], vcc
	s_xor_b64 s[50:51], exec, s[50:51]
	s_cbranch_execz .LBB0_442
; %bb.441:                              ;   in Loop: Header=BB0_282 Depth=3
	v_ffbh_u32_e32 v13, v36
	v_bfe_u32 v12, v54, 26, 5
	v_min_u32_e32 v13, 32, v13
	v_subrev_u32_e32 v14, 29, v13
	v_sub_u32_e32 v13, 30, v13
	v_cmp_eq_u32_e32 vcc, 0, v12
	v_lshlrev_b64 v[38:39], v14, v[40:41]
	v_cndmask_b32_e32 v12, v12, v13, vcc
	v_and_b32_e32 v14, 3, v38
	v_lshl_add_u32 v12, v12, 23, v7
	v_cndmask_b32_e32 v13, v36, v14, vcc
	v_and_or_b32 v12, v54, s65, v12
	v_lshl_or_b32 v23, v13, 21, v12
                                        ; implicit-def: $vgpr36
.LBB0_442:                              ;   in Loop: Header=BB0_282 Depth=3
	s_andn2_saveexec_b64 s[50:51], s[50:51]
; %bb.443:                              ;   in Loop: Header=BB0_282 Depth=3
	v_cmp_lt_i32_e32 vcc, -1, v54
	v_cndmask_b32_e32 v12, v24, v25, vcc
	v_cmp_eq_u32_e32 vcc, 0, v36
	v_cndmask_b32_e32 v23, v6, v12, vcc
; %bb.444:                              ;   in Loop: Header=BB0_282 Depth=3
	s_or_b64 exec, exec, s[50:51]
.LBB0_445:                              ;   in Loop: Header=BB0_282 Depth=3
	s_or_b64 exec, exec, s[48:49]
.LBB0_446:                              ;   in Loop: Header=BB0_282 Depth=3
	s_or_b64 exec, exec, s[18:19]
	v_mul_f32_e32 v37, v62, v23
	v_and_b32_sdwa v23, v37, s66 dst_sel:DWORD dst_unused:UNUSED_PAD src0_sel:BYTE_3 src1_sel:DWORD
	v_and_b32_e32 v38, 0x7f800000, v37
	v_mov_b32_e32 v39, v55
	v_and_b32_e32 v54, 0x7fffff, v37
	v_or_b32_e32 v36, 0x7b, v23
	v_cmp_ne_u64_e32 vcc, s[38:39], v[38:39]
	s_and_saveexec_b64 s[18:19], vcc
	s_xor_b64 s[48:49], exec, s[18:19]
	s_cbranch_execz .LBB0_456
; %bb.447:                              ;   in Loop: Header=BB0_282 Depth=3
	v_and_b32_e32 v38, 0x7fffffff, v37
	v_mov_b32_e32 v39, v55
	v_cmp_gt_u64_e32 vcc, s[40:41], v[38:39]
	s_and_saveexec_b64 s[50:51], vcc
	s_cbranch_execz .LBB0_455
; %bb.448:                              ;   in Loop: Header=BB0_282 Depth=3
	v_cmp_ne_u32_e32 vcc, 0, v37
	v_mov_b32_e32 v36, 0
	s_and_saveexec_b64 s[52:53], vcc
	s_cbranch_execz .LBB0_454
; %bb.449:                              ;   in Loop: Header=BB0_282 Depth=3
	v_bfe_u32 v12, v37, 23, 8
	v_sub_u32_e32 v14, 0x71, v12
	v_cmp_gt_u32_e32 vcc, s67, v12
	v_add_u32_e32 v13, 0xffffff81, v12
	v_cndmask_b32_e32 v14, 0, v14, vcc
	v_cmp_eq_u32_e32 vcc, 0, v12
	v_cndmask_b32_e32 v12, v13, v48, vcc
	v_cndmask_b32_e32 v13, v14, v49, vcc
	v_add_u32_e32 v14, 21, v13
	v_or_b32_e32 v15, 0x800000, v54
	v_lshlrev_b64 v[36:37], v14, -1
	v_cndmask_b32_e32 v54, v15, v54, vcc
	v_not_b32_e32 v14, v37
	v_and_b32_e32 v39, 0, v14
	v_add_u32_e32 v14, 20, v13
	v_lshrrev_b64 v[40:41], v13, v[54:55]
	v_not_b32_e32 v15, v36
	v_lshlrev_b64 v[50:51], v14, 1
	v_lshrrev_b32_e32 v14, 23, v40
	v_and_b32_e32 v38, v54, v15
	v_add3_u32 v54, v13, v12, v14
	v_bfe_u32 v12, v40, 21, 1
	v_add_u32_e32 v12, -1, v12
	v_cmp_eq_u64_e32 vcc, v[38:39], v[50:51]
	v_cndmask_b32_e32 v12, 0, v12, vcc
	v_add_u32_e32 v12, v12, v40
	v_and_b32_e32 v12, 0x1fffff, v12
	v_add_co_u32_e32 v40, vcc, v12, v40
	v_add_u32_e32 v37, 14, v54
	v_addc_co_u32_e32 v41, vcc, 0, v41, vcc
	v_cmp_ne_u32_e32 vcc, 0, v37
                                        ; implicit-def: $vgpr36
	s_and_saveexec_b64 s[18:19], vcc
	s_xor_b64 s[18:19], exec, s[18:19]
; %bb.450:                              ;   in Loop: Header=BB0_282 Depth=3
	v_add_u32_e32 v12, 15, v54
	v_cmp_lt_u64_e32 vcc, s[42:43], v[40:41]
	v_cndmask_b32_e32 v36, v37, v12, vcc
	v_cndmask_b32_e64 v12, 0, 1, vcc
	v_lshrrev_b64 v[40:41], v12, v[40:41]
; %bb.451:                              ;   in Loop: Header=BB0_282 Depth=3
	s_andn2_saveexec_b64 s[18:19], s[18:19]
; %bb.452:                              ;   in Loop: Header=BB0_282 Depth=3
	v_bfe_u32 v36, v40, 23, 1
; %bb.453:                              ;   in Loop: Header=BB0_282 Depth=3
	s_or_b64 exec, exec, s[18:19]
	v_lshrrev_b64 v[38:39], 21, v[40:41]
	v_cmp_gt_i32_e32 vcc, 32, v36
	v_min_i32_e32 v12, 31, v36
	v_cndmask_b32_e32 v39, 0, v39, vcc
	v_cndmask_b32_e32 v38, 3, v38, vcc
	v_lshlrev_b32_e32 v12, 2, v12
	v_cmp_eq_u32_e32 vcc, 0, v36
	v_cmp_eq_u64_e64 s[18:19], 0, v[38:39]
	v_and_b32_e32 v12, 0xfc, v12
	v_and_or_b32 v12, v38, 3, v12
	s_and_b64 s[18:19], vcc, s[18:19]
	v_cndmask_b32_e64 v12, v12, 0, s[18:19]
	v_or_b32_e32 v36, v12, v23
.LBB0_454:                              ;   in Loop: Header=BB0_282 Depth=3
	s_or_b64 exec, exec, s[52:53]
.LBB0_455:                              ;   in Loop: Header=BB0_282 Depth=3
	s_or_b64 exec, exec, s[50:51]
                                        ; implicit-def: $vgpr37
.LBB0_456:                              ;   in Loop: Header=BB0_282 Depth=3
	s_andn2_saveexec_b64 s[18:19], s[48:49]
; %bb.457:                              ;   in Loop: Header=BB0_282 Depth=3
	v_or_b32_sdwa v12, v37, s68 dst_sel:DWORD dst_unused:UNUSED_PAD src0_sel:BYTE_3 src1_sel:DWORD
	v_cmp_eq_u64_e32 vcc, 0, v[54:55]
	v_cndmask_b32_e32 v36, v12, v36, vcc
; %bb.458:                              ;   in Loop: Header=BB0_282 Depth=3
	s_or_b64 exec, exec, s[18:19]
	s_waitcnt vmcnt(0)
	v_cmp_ne_u16_sdwa vcc, v16, v55 src0_sel:BYTE_0 src1_sel:DWORD
	v_mov_b32_e32 v37, 0
	v_mov_b32_e32 v23, 0
	s_and_saveexec_b64 s[18:19], vcc
	s_cbranch_execz .LBB0_466
; %bb.459:                              ;   in Loop: Header=BB0_282 Depth=3
	v_cmp_ne_u16_sdwa vcc, sext(v16), s63 src0_sel:BYTE_0 src1_sel:DWORD
	v_bfrev_b32_e32 v23, 1
	s_and_saveexec_b64 s[48:49], vcc
	s_cbranch_execz .LBB0_465
; %bb.460:                              ;   in Loop: Header=BB0_282 Depth=3
	v_and_b32_e32 v12, 0x7c, v16
	v_and_b32_e32 v54, 3, v16
	v_cmp_ne_u32_e32 vcc, s64, v12
                                        ; implicit-def: $vgpr23
	s_and_saveexec_b64 s[50:51], vcc
	s_xor_b64 s[50:51], exec, s[50:51]
	s_cbranch_execz .LBB0_462
; %bb.461:                              ;   in Loop: Header=BB0_282 Depth=3
	v_ffbh_u32_e32 v13, v54
	v_min_u32_e32 v13, 32, v13
	v_bfe_u32 v12, v16, 2, 5
	v_subrev_u32_e32 v14, 29, v13
	v_lshlrev_b64 v[38:39], v14, v[16:17]
	v_sub_u32_e32 v13, 30, v13
	v_cmp_eq_u32_e32 vcc, 0, v12
	v_and_b32_e32 v14, 3, v38
	v_cndmask_b32_e32 v12, v12, v13, vcc
	v_cndmask_b32_e32 v13, v54, v14, vcc
	v_lshlrev_b32_e32 v14, 24, v16
	v_lshl_add_u32 v12, v12, 23, v7
	v_and_or_b32 v12, v14, s65, v12
	v_lshl_or_b32 v23, v13, 21, v12
                                        ; implicit-def: $vgpr54
.LBB0_462:                              ;   in Loop: Header=BB0_282 Depth=3
	s_andn2_saveexec_b64 s[50:51], s[50:51]
; %bb.463:                              ;   in Loop: Header=BB0_282 Depth=3
	v_cmp_gt_i16_sdwa vcc, sext(v16), v47 src0_sel:BYTE_0 src1_sel:DWORD
	v_cndmask_b32_e32 v12, v24, v25, vcc
	v_cmp_eq_u32_e32 vcc, 0, v54
	v_cndmask_b32_e32 v23, v6, v12, vcc
; %bb.464:                              ;   in Loop: Header=BB0_282 Depth=3
	s_or_b64 exec, exec, s[50:51]
.LBB0_465:                              ;   in Loop: Header=BB0_282 Depth=3
	s_or_b64 exec, exec, s[48:49]
.LBB0_466:                              ;   in Loop: Header=BB0_282 Depth=3
	s_or_b64 exec, exec, s[18:19]
	v_cmp_ne_u16_sdwa vcc, v10, v55 src0_sel:BYTE_0 src1_sel:DWORD
	s_and_saveexec_b64 s[18:19], vcc
	s_cbranch_execz .LBB0_474
; %bb.467:                              ;   in Loop: Header=BB0_282 Depth=3
	v_cmp_ne_u16_sdwa vcc, sext(v10), s63 src0_sel:BYTE_0 src1_sel:DWORD
	v_bfrev_b32_e32 v37, 1
	s_and_saveexec_b64 s[48:49], vcc
	s_cbranch_execz .LBB0_473
; %bb.468:                              ;   in Loop: Header=BB0_282 Depth=3
	v_and_b32_e32 v12, 0x7c, v10
	v_and_b32_e32 v17, 3, v10
	v_cmp_ne_u32_e32 vcc, s64, v12
                                        ; implicit-def: $vgpr37
	s_and_saveexec_b64 s[50:51], vcc
	s_xor_b64 s[50:51], exec, s[50:51]
	s_cbranch_execz .LBB0_470
; %bb.469:                              ;   in Loop: Header=BB0_282 Depth=3
	v_ffbh_u32_e32 v13, v17
	v_min_u32_e32 v13, 32, v13
	v_bfe_u32 v12, v10, 2, 5
	v_subrev_u32_e32 v14, 29, v13
	v_lshlrev_b64 v[38:39], v14, v[10:11]
	v_sub_u32_e32 v13, 30, v13
	v_cmp_eq_u32_e32 vcc, 0, v12
	v_and_b32_e32 v14, 3, v38
	v_cndmask_b32_e32 v12, v12, v13, vcc
	v_cndmask_b32_e32 v13, v17, v14, vcc
	v_lshlrev_b32_e32 v14, 24, v10
	v_lshl_add_u32 v12, v12, 23, v7
	v_and_or_b32 v12, v14, s65, v12
	v_lshl_or_b32 v37, v13, 21, v12
                                        ; implicit-def: $vgpr17
.LBB0_470:                              ;   in Loop: Header=BB0_282 Depth=3
	s_andn2_saveexec_b64 s[50:51], s[50:51]
; %bb.471:                              ;   in Loop: Header=BB0_282 Depth=3
	v_cmp_gt_i16_sdwa vcc, sext(v10), v47 src0_sel:BYTE_0 src1_sel:DWORD
	v_cndmask_b32_e32 v12, v24, v25, vcc
	v_cmp_eq_u32_e32 vcc, 0, v17
	v_cndmask_b32_e32 v37, v6, v12, vcc
; %bb.472:                              ;   in Loop: Header=BB0_282 Depth=3
	s_or_b64 exec, exec, s[50:51]
.LBB0_473:                              ;   in Loop: Header=BB0_282 Depth=3
	s_or_b64 exec, exec, s[48:49]
.LBB0_474:                              ;   in Loop: Header=BB0_282 Depth=3
	s_or_b64 exec, exec, s[18:19]
	v_add_f32_e32 v37, v23, v37
	v_and_b32_sdwa v23, v37, s66 dst_sel:DWORD dst_unused:UNUSED_PAD src0_sel:BYTE_3 src1_sel:DWORD
	v_and_b32_e32 v38, 0x7f800000, v37
	v_mov_b32_e32 v39, v55
	v_and_b32_e32 v54, 0x7fffff, v37
	v_or_b32_e32 v17, 0x7b, v23
	v_cmp_ne_u64_e32 vcc, s[38:39], v[38:39]
	s_and_saveexec_b64 s[18:19], vcc
	s_xor_b64 s[48:49], exec, s[18:19]
	s_cbranch_execz .LBB0_484
; %bb.475:                              ;   in Loop: Header=BB0_282 Depth=3
	v_and_b32_e32 v38, 0x7fffffff, v37
	v_mov_b32_e32 v39, v55
	v_cmp_gt_u64_e32 vcc, s[40:41], v[38:39]
	s_and_saveexec_b64 s[50:51], vcc
	s_cbranch_execz .LBB0_483
; %bb.476:                              ;   in Loop: Header=BB0_282 Depth=3
	v_cmp_ne_u32_e32 vcc, 0, v37
	v_mov_b32_e32 v17, 0
	s_and_saveexec_b64 s[52:53], vcc
	s_cbranch_execz .LBB0_482
; %bb.477:                              ;   in Loop: Header=BB0_282 Depth=3
	v_bfe_u32 v12, v37, 23, 8
	v_sub_u32_e32 v14, 0x71, v12
	v_cmp_gt_u32_e32 vcc, s67, v12
	v_add_u32_e32 v13, 0xffffff81, v12
	v_cndmask_b32_e32 v14, 0, v14, vcc
	v_cmp_eq_u32_e32 vcc, 0, v12
	v_cndmask_b32_e32 v12, v13, v48, vcc
	v_cndmask_b32_e32 v13, v14, v49, vcc
	v_add_u32_e32 v14, 21, v13
	v_or_b32_e32 v15, 0x800000, v54
	v_lshlrev_b64 v[38:39], v14, -1
	v_cndmask_b32_e32 v54, v15, v54, vcc
	v_not_b32_e32 v14, v39
	v_and_b32_e32 v39, 0, v14
	v_add_u32_e32 v14, 20, v13
	v_lshrrev_b64 v[40:41], v13, v[54:55]
	v_not_b32_e32 v15, v38
	v_lshlrev_b64 v[50:51], v14, 1
	v_lshrrev_b32_e32 v14, 23, v40
	v_and_b32_e32 v38, v54, v15
	v_add3_u32 v54, v13, v12, v14
	v_bfe_u32 v12, v40, 21, 1
	v_add_u32_e32 v12, -1, v12
	v_cmp_eq_u64_e32 vcc, v[38:39], v[50:51]
	v_cndmask_b32_e32 v12, 0, v12, vcc
	v_add_u32_e32 v12, v12, v40
	v_and_b32_e32 v12, 0x1fffff, v12
	v_add_co_u32_e32 v40, vcc, v12, v40
	v_add_u32_e32 v37, 14, v54
	v_addc_co_u32_e32 v41, vcc, 0, v41, vcc
	v_cmp_ne_u32_e32 vcc, 0, v37
                                        ; implicit-def: $vgpr17
	s_and_saveexec_b64 s[18:19], vcc
	s_xor_b64 s[18:19], exec, s[18:19]
; %bb.478:                              ;   in Loop: Header=BB0_282 Depth=3
	v_add_u32_e32 v12, 15, v54
	v_cmp_lt_u64_e32 vcc, s[42:43], v[40:41]
	v_cndmask_b32_e32 v17, v37, v12, vcc
	v_cndmask_b32_e64 v12, 0, 1, vcc
	v_lshrrev_b64 v[40:41], v12, v[40:41]
; %bb.479:                              ;   in Loop: Header=BB0_282 Depth=3
	s_andn2_saveexec_b64 s[18:19], s[18:19]
; %bb.480:                              ;   in Loop: Header=BB0_282 Depth=3
	v_bfe_u32 v17, v40, 23, 1
; %bb.481:                              ;   in Loop: Header=BB0_282 Depth=3
	s_or_b64 exec, exec, s[18:19]
	v_lshrrev_b64 v[38:39], 21, v[40:41]
	v_cmp_gt_i32_e32 vcc, 32, v17
	v_cndmask_b32_e32 v39, 0, v39, vcc
	v_cndmask_b32_e32 v38, 3, v38, vcc
	v_min_i32_e32 v12, 31, v17
	v_cmp_eq_u32_e32 vcc, 0, v17
	v_cmp_eq_u64_e64 s[18:19], 0, v[38:39]
	v_lshlrev_b32_e32 v12, 2, v12
	v_and_or_b32 v12, v38, 3, v12
	s_and_b64 s[18:19], vcc, s[18:19]
	v_cndmask_b32_e64 v12, v12, 0, s[18:19]
	v_or_b32_e32 v17, v12, v23
.LBB0_482:                              ;   in Loop: Header=BB0_282 Depth=3
	s_or_b64 exec, exec, s[52:53]
.LBB0_483:                              ;   in Loop: Header=BB0_282 Depth=3
	s_or_b64 exec, exec, s[50:51]
                                        ; implicit-def: $vgpr37
.LBB0_484:                              ;   in Loop: Header=BB0_282 Depth=3
	s_andn2_saveexec_b64 s[18:19], s[48:49]
; %bb.485:                              ;   in Loop: Header=BB0_282 Depth=3
	v_or_b32_sdwa v12, v37, s68 dst_sel:DWORD dst_unused:UNUSED_PAD src0_sel:BYTE_3 src1_sel:DWORD
	v_cmp_eq_u64_e32 vcc, 0, v[54:55]
	v_cndmask_b32_e32 v17, v12, v17, vcc
; %bb.486:                              ;   in Loop: Header=BB0_282 Depth=3
	s_or_b64 exec, exec, s[18:19]
	v_lshrrev_b16_e32 v54, 8, v16
	v_cmp_ne_u16_e32 vcc, 0, v54
	v_mov_b32_e32 v23, 0
	v_mov_b32_e32 v37, 0
	s_and_saveexec_b64 s[18:19], vcc
	s_cbranch_execz .LBB0_494
; %bb.487:                              ;   in Loop: Header=BB0_282 Depth=3
	v_cmp_ne_u16_e32 vcc, s66, v54
	v_bfrev_b32_e32 v37, 1
	s_and_saveexec_b64 s[48:49], vcc
	s_cbranch_execz .LBB0_493
; %bb.488:                              ;   in Loop: Header=BB0_282 Depth=3
	v_and_b32_e32 v12, 0x7c, v54
	v_and_b32_e32 v40, 3, v54
	v_cmp_ne_u32_e32 vcc, s64, v12
                                        ; implicit-def: $vgpr37
	s_and_saveexec_b64 s[50:51], vcc
	s_xor_b64 s[50:51], exec, s[50:51]
	s_cbranch_execz .LBB0_490
; %bb.489:                              ;   in Loop: Header=BB0_282 Depth=3
	v_ffbh_u32_e32 v13, v40
	v_min_u32_e32 v13, 32, v13
	v_bfe_u32 v12, v54, 2, 5
	v_subrev_u32_e32 v14, 29, v13
	v_lshlrev_b64 v[38:39], v14, v[54:55]
	v_sub_u32_e32 v13, 30, v13
	v_cmp_eq_u32_e32 vcc, 0, v12
	v_and_b32_e32 v14, 3, v38
	v_cndmask_b32_e32 v12, v12, v13, vcc
	v_cndmask_b32_e32 v13, v40, v14, vcc
	v_lshlrev_b32_e32 v14, 16, v16
	v_lshl_add_u32 v12, v12, 23, v7
	v_and_or_b32 v12, v14, s65, v12
	v_lshl_or_b32 v37, v13, 21, v12
                                        ; implicit-def: $vgpr40
.LBB0_490:                              ;   in Loop: Header=BB0_282 Depth=3
	s_andn2_saveexec_b64 s[50:51], s[50:51]
; %bb.491:                              ;   in Loop: Header=BB0_282 Depth=3
	v_cmp_lt_i16_e32 vcc, -1, v16
	v_cndmask_b32_e32 v12, v24, v25, vcc
	v_cmp_eq_u32_e32 vcc, 0, v40
	v_cndmask_b32_e32 v37, v6, v12, vcc
; %bb.492:                              ;   in Loop: Header=BB0_282 Depth=3
	s_or_b64 exec, exec, s[50:51]
.LBB0_493:                              ;   in Loop: Header=BB0_282 Depth=3
	s_or_b64 exec, exec, s[48:49]
.LBB0_494:                              ;   in Loop: Header=BB0_282 Depth=3
	s_or_b64 exec, exec, s[18:19]
	v_perm_b32 v10, v11, v10, s72
	v_lshrrev_b16_e32 v54, 8, v10
	v_cmp_ne_u16_e32 vcc, 0, v54
	s_and_saveexec_b64 s[18:19], vcc
	s_cbranch_execz .LBB0_502
; %bb.495:                              ;   in Loop: Header=BB0_282 Depth=3
	v_cmp_ne_u16_e32 vcc, s66, v54
	v_bfrev_b32_e32 v23, 1
	s_and_saveexec_b64 s[48:49], vcc
	s_cbranch_execz .LBB0_501
; %bb.496:                              ;   in Loop: Header=BB0_282 Depth=3
	v_and_b32_e32 v12, 0x7c, v54
	v_and_b32_e32 v11, 3, v54
	v_cmp_ne_u32_e32 vcc, s64, v12
                                        ; implicit-def: $vgpr23
	s_and_saveexec_b64 s[50:51], vcc
	s_xor_b64 s[50:51], exec, s[50:51]
	s_cbranch_execz .LBB0_498
; %bb.497:                              ;   in Loop: Header=BB0_282 Depth=3
	v_ffbh_u32_e32 v13, v11
	v_bfe_u32 v12, v54, 2, 5
	v_min_u32_e32 v13, 32, v13
	v_subrev_u32_e32 v14, 29, v13
	v_sub_u32_e32 v13, 30, v13
	v_cmp_eq_u32_e32 vcc, 0, v12
	v_lshlrev_b64 v[38:39], v14, v[54:55]
	v_cndmask_b32_e32 v12, v12, v13, vcc
	v_and_b32_e32 v14, 3, v38
	v_lshlrev_b32_e32 v10, 16, v10
	v_lshl_add_u32 v12, v12, 23, v7
	v_cndmask_b32_e32 v11, v11, v14, vcc
	v_and_or_b32 v10, v10, s65, v12
	v_lshl_or_b32 v23, v11, 21, v10
                                        ; implicit-def: $vgpr11
                                        ; implicit-def: $vgpr10
.LBB0_498:                              ;   in Loop: Header=BB0_282 Depth=3
	s_andn2_saveexec_b64 s[50:51], s[50:51]
; %bb.499:                              ;   in Loop: Header=BB0_282 Depth=3
	v_cmp_lt_i16_e32 vcc, -1, v10
	v_cndmask_b32_e32 v10, v24, v25, vcc
	v_cmp_eq_u32_e32 vcc, 0, v11
	v_cndmask_b32_e32 v23, v6, v10, vcc
; %bb.500:                              ;   in Loop: Header=BB0_282 Depth=3
	s_or_b64 exec, exec, s[50:51]
.LBB0_501:                              ;   in Loop: Header=BB0_282 Depth=3
	s_or_b64 exec, exec, s[48:49]
.LBB0_502:                              ;   in Loop: Header=BB0_282 Depth=3
	s_or_b64 exec, exec, s[18:19]
	v_add_f32_e32 v10, v37, v23
	v_and_b32_sdwa v23, v10, s66 dst_sel:DWORD dst_unused:UNUSED_PAD src0_sel:BYTE_3 src1_sel:DWORD
	v_and_b32_e32 v38, 0x7f800000, v10
	v_mov_b32_e32 v39, v55
	v_and_b32_e32 v54, 0x7fffff, v10
	v_or_b32_e32 v40, 0x7b, v23
	v_cmp_ne_u64_e32 vcc, s[38:39], v[38:39]
	s_and_saveexec_b64 s[18:19], vcc
	s_xor_b64 s[48:49], exec, s[18:19]
	s_cbranch_execz .LBB0_512
; %bb.503:                              ;   in Loop: Header=BB0_282 Depth=3
	v_and_b32_e32 v38, 0x7fffffff, v10
	v_mov_b32_e32 v39, v55
	v_cmp_gt_u64_e32 vcc, s[40:41], v[38:39]
	s_and_saveexec_b64 s[50:51], vcc
	s_cbranch_execz .LBB0_511
; %bb.504:                              ;   in Loop: Header=BB0_282 Depth=3
	v_cmp_ne_u32_e32 vcc, 0, v10
	v_mov_b32_e32 v40, 0
	s_and_saveexec_b64 s[52:53], vcc
	s_cbranch_execz .LBB0_510
; %bb.505:                              ;   in Loop: Header=BB0_282 Depth=3
	v_bfe_u32 v10, v10, 23, 8
	v_sub_u32_e32 v12, 0x71, v10
	v_cmp_gt_u32_e32 vcc, s67, v10
	v_cndmask_b32_e32 v12, 0, v12, vcc
	v_cmp_eq_u32_e32 vcc, 0, v10
	v_or_b32_e32 v13, 0x800000, v54
	v_cndmask_b32_e32 v12, v12, v49, vcc
	v_add_u32_e32 v11, 0xffffff81, v10
	v_cndmask_b32_e32 v54, v13, v54, vcc
	v_add_u32_e32 v10, 21, v12
	v_cndmask_b32_e32 v14, v11, v48, vcc
	v_lshlrev_b64 v[10:11], v10, -1
	v_add_u32_e32 v13, 20, v12
	v_lshrrev_b64 v[50:51], v12, v[54:55]
	v_not_b32_e32 v11, v11
	v_not_b32_e32 v10, v10
	v_lshlrev_b64 v[38:39], v13, 1
	v_lshrrev_b32_e32 v13, 23, v50
	v_and_b32_e32 v11, 0, v11
	v_and_b32_e32 v10, v54, v10
	v_add3_u32 v40, v12, v14, v13
	v_bfe_u32 v12, v50, 21, 1
	v_add_u32_e32 v12, -1, v12
	v_cmp_eq_u64_e32 vcc, v[10:11], v[38:39]
	v_cndmask_b32_e32 v10, 0, v12, vcc
	v_add_u32_e32 v10, v10, v50
	v_and_b32_e32 v10, 0x1fffff, v10
	v_add_co_u32_e32 v10, vcc, v10, v50
	v_add_u32_e32 v54, 14, v40
	v_addc_co_u32_e32 v11, vcc, 0, v51, vcc
	v_cmp_ne_u32_e32 vcc, 0, v54
                                        ; implicit-def: $vgpr37
	s_and_saveexec_b64 s[18:19], vcc
	s_xor_b64 s[18:19], exec, s[18:19]
; %bb.506:                              ;   in Loop: Header=BB0_282 Depth=3
	v_add_u32_e32 v12, 15, v40
	v_cmp_lt_u64_e32 vcc, s[42:43], v[10:11]
	v_cndmask_b32_e32 v37, v54, v12, vcc
	v_cndmask_b32_e64 v12, 0, 1, vcc
	v_lshrrev_b64 v[10:11], v12, v[10:11]
; %bb.507:                              ;   in Loop: Header=BB0_282 Depth=3
	s_andn2_saveexec_b64 s[18:19], s[18:19]
; %bb.508:                              ;   in Loop: Header=BB0_282 Depth=3
	v_bfe_u32 v37, v10, 23, 1
; %bb.509:                              ;   in Loop: Header=BB0_282 Depth=3
	s_or_b64 exec, exec, s[18:19]
	v_lshrrev_b64 v[10:11], 21, v[10:11]
	v_cmp_gt_i32_e32 vcc, 32, v37
	v_cndmask_b32_e32 v11, 0, v11, vcc
	v_cndmask_b32_e32 v10, 3, v10, vcc
	v_cmp_eq_u64_e64 s[18:19], 0, v[10:11]
	v_min_i32_e32 v11, 31, v37
	v_cmp_eq_u32_e32 vcc, 0, v37
	v_lshlrev_b32_e32 v11, 2, v11
	v_and_or_b32 v10, v10, 3, v11
	s_and_b64 s[18:19], vcc, s[18:19]
	v_cndmask_b32_e64 v10, v10, 0, s[18:19]
	v_or_b32_e32 v40, v10, v23
.LBB0_510:                              ;   in Loop: Header=BB0_282 Depth=3
	s_or_b64 exec, exec, s[52:53]
.LBB0_511:                              ;   in Loop: Header=BB0_282 Depth=3
	s_or_b64 exec, exec, s[50:51]
                                        ; implicit-def: $vgpr10
.LBB0_512:                              ;   in Loop: Header=BB0_282 Depth=3
	s_andn2_saveexec_b64 s[18:19], s[48:49]
; %bb.513:                              ;   in Loop: Header=BB0_282 Depth=3
	v_or_b32_sdwa v10, v10, s68 dst_sel:DWORD dst_unused:UNUSED_PAD src0_sel:BYTE_3 src1_sel:DWORD
	v_cmp_eq_u64_e32 vcc, 0, v[54:55]
	v_cndmask_b32_e32 v40, v10, v40, vcc
; %bb.514:                              ;   in Loop: Header=BB0_282 Depth=3
	s_or_b64 exec, exec, s[18:19]
	v_lshrrev_b32_e32 v10, 16, v16
	v_cmp_ne_u16_sdwa vcc, v10, v55 src0_sel:BYTE_0 src1_sel:DWORD
	v_mov_b32_e32 v11, 0
	v_mov_b32_e32 v23, 0
	s_and_saveexec_b64 s[18:19], vcc
	s_cbranch_execz .LBB0_522
; %bb.515:                              ;   in Loop: Header=BB0_282 Depth=3
	v_cmp_ne_u16_sdwa vcc, v10, s66 src0_sel:BYTE_0 src1_sel:DWORD
	v_bfrev_b32_e32 v23, 1
	s_and_saveexec_b64 s[48:49], vcc
	s_cbranch_execz .LBB0_521
; %bb.516:                              ;   in Loop: Header=BB0_282 Depth=3
	v_and_b32_e32 v12, 0x7c0000, v16
	v_bfe_u32 v37, v16, 16, 2
	v_cmp_ne_u32_e32 vcc, s69, v12
                                        ; implicit-def: $vgpr23
	s_and_saveexec_b64 s[50:51], vcc
	s_xor_b64 s[50:51], exec, s[50:51]
	s_cbranch_execz .LBB0_518
; %bb.517:                              ;   in Loop: Header=BB0_282 Depth=3
	v_ffbh_u32_e32 v13, v37
	v_min_u32_e32 v13, 32, v13
	v_bfe_u32 v12, v16, 18, 5
	v_subrev_u32_e32 v14, 29, v13
	v_lshlrev_b64 v[38:39], v14, v[10:11]
	v_sub_u32_e32 v10, 30, v13
	v_cmp_eq_u32_e32 vcc, 0, v12
	v_and_b32_e32 v13, 3, v38
	v_cndmask_b32_e32 v10, v12, v10, vcc
	v_cndmask_b32_e32 v12, v37, v13, vcc
	v_lshlrev_b32_e32 v13, 8, v16
	v_lshl_add_u32 v10, v10, 23, v7
	v_and_or_b32 v10, v13, s65, v10
	v_lshl_or_b32 v23, v12, 21, v10
                                        ; implicit-def: $vgpr37
                                        ; implicit-def: $vgpr10
.LBB0_518:                              ;   in Loop: Header=BB0_282 Depth=3
	s_andn2_saveexec_b64 s[50:51], s[50:51]
; %bb.519:                              ;   in Loop: Header=BB0_282 Depth=3
	v_cmp_gt_i16_sdwa vcc, sext(v10), v47 src0_sel:BYTE_0 src1_sel:DWORD
	v_cndmask_b32_e32 v10, v24, v25, vcc
	v_cmp_eq_u32_e32 vcc, 0, v37
	v_cndmask_b32_e32 v23, v6, v10, vcc
; %bb.520:                              ;   in Loop: Header=BB0_282 Depth=3
	s_or_b64 exec, exec, s[50:51]
.LBB0_521:                              ;   in Loop: Header=BB0_282 Depth=3
	s_or_b64 exec, exec, s[48:49]
.LBB0_522:                              ;   in Loop: Header=BB0_282 Depth=3
	s_or_b64 exec, exec, s[18:19]
	v_cmp_ne_u16_sdwa vcc, v2, v55 src0_sel:BYTE_0 src1_sel:DWORD
	s_and_saveexec_b64 s[18:19], vcc
	s_cbranch_execz .LBB0_530
; %bb.523:                              ;   in Loop: Header=BB0_282 Depth=3
	v_cmp_ne_u16_sdwa vcc, sext(v2), s63 src0_sel:BYTE_0 src1_sel:DWORD
	v_bfrev_b32_e32 v11, 1
	s_and_saveexec_b64 s[48:49], vcc
	s_cbranch_execz .LBB0_529
; %bb.524:                              ;   in Loop: Header=BB0_282 Depth=3
	v_and_b32_e32 v11, 0x7c, v2
	v_and_b32_e32 v10, 3, v2
	v_cmp_ne_u32_e32 vcc, s64, v11
                                        ; implicit-def: $vgpr11
	s_and_saveexec_b64 s[50:51], vcc
	s_xor_b64 s[50:51], exec, s[50:51]
	s_cbranch_execz .LBB0_526
; %bb.525:                              ;   in Loop: Header=BB0_282 Depth=3
	v_ffbh_u32_e32 v12, v10
	v_bfe_u32 v11, v2, 2, 5
	v_min_u32_e32 v12, 32, v12
	v_subrev_u32_e32 v13, 29, v12
	v_sub_u32_e32 v12, 30, v12
	v_cmp_eq_u32_e32 vcc, 0, v11
	v_lshlrev_b64 v[38:39], v13, v[2:3]
	v_cndmask_b32_e32 v11, v11, v12, vcc
	v_and_b32_e32 v13, 3, v38
	v_lshlrev_b32_e32 v12, 24, v2
	v_lshl_add_u32 v11, v11, 23, v7
	v_cndmask_b32_e32 v10, v10, v13, vcc
	v_and_or_b32 v11, v12, s65, v11
	v_lshl_or_b32 v11, v10, 21, v11
                                        ; implicit-def: $vgpr10
.LBB0_526:                              ;   in Loop: Header=BB0_282 Depth=3
	s_andn2_saveexec_b64 s[50:51], s[50:51]
; %bb.527:                              ;   in Loop: Header=BB0_282 Depth=3
	v_cmp_gt_i16_sdwa vcc, sext(v2), v47 src0_sel:BYTE_0 src1_sel:DWORD
	v_cndmask_b32_e32 v11, v24, v25, vcc
	v_cmp_eq_u32_e32 vcc, 0, v10
	v_cndmask_b32_e32 v11, v6, v11, vcc
; %bb.528:                              ;   in Loop: Header=BB0_282 Depth=3
	s_or_b64 exec, exec, s[50:51]
.LBB0_529:                              ;   in Loop: Header=BB0_282 Depth=3
	s_or_b64 exec, exec, s[48:49]
.LBB0_530:                              ;   in Loop: Header=BB0_282 Depth=3
	s_or_b64 exec, exec, s[18:19]
	v_add_f32_e32 v10, v23, v11
	v_and_b32_sdwa v37, v10, s66 dst_sel:DWORD dst_unused:UNUSED_PAD src0_sel:BYTE_3 src1_sel:DWORD
	v_and_b32_e32 v38, 0x7f800000, v10
	v_mov_b32_e32 v39, v55
	v_and_b32_e32 v54, 0x7fffff, v10
	v_or_b32_e32 v23, 0x7b, v37
	v_cmp_ne_u64_e32 vcc, s[38:39], v[38:39]
	s_and_saveexec_b64 s[18:19], vcc
	s_xor_b64 s[48:49], exec, s[18:19]
	s_cbranch_execz .LBB0_540
; %bb.531:                              ;   in Loop: Header=BB0_282 Depth=3
	v_and_b32_e32 v38, 0x7fffffff, v10
	v_mov_b32_e32 v39, v55
	v_cmp_gt_u64_e32 vcc, s[40:41], v[38:39]
	s_and_saveexec_b64 s[50:51], vcc
	s_cbranch_execz .LBB0_539
; %bb.532:                              ;   in Loop: Header=BB0_282 Depth=3
	v_cmp_ne_u32_e32 vcc, 0, v10
	v_mov_b32_e32 v23, 0
	s_and_saveexec_b64 s[52:53], vcc
	s_cbranch_execz .LBB0_538
; %bb.533:                              ;   in Loop: Header=BB0_282 Depth=3
	v_bfe_u32 v10, v10, 23, 8
	v_sub_u32_e32 v12, 0x71, v10
	v_cmp_gt_u32_e32 vcc, s67, v10
	v_cndmask_b32_e32 v12, 0, v12, vcc
	v_cmp_eq_u32_e32 vcc, 0, v10
	v_or_b32_e32 v13, 0x800000, v54
	v_cndmask_b32_e32 v12, v12, v49, vcc
	v_add_u32_e32 v11, 0xffffff81, v10
	v_cndmask_b32_e32 v54, v13, v54, vcc
	v_add_u32_e32 v10, 21, v12
	v_cndmask_b32_e32 v14, v11, v48, vcc
	v_lshlrev_b64 v[10:11], v10, -1
	v_add_u32_e32 v13, 20, v12
	v_lshrrev_b64 v[50:51], v12, v[54:55]
	v_not_b32_e32 v11, v11
	v_not_b32_e32 v10, v10
	v_lshlrev_b64 v[38:39], v13, 1
	v_lshrrev_b32_e32 v13, 23, v50
	v_and_b32_e32 v11, 0, v11
	v_and_b32_e32 v10, v54, v10
	v_add3_u32 v41, v12, v14, v13
	v_bfe_u32 v12, v50, 21, 1
	v_add_u32_e32 v12, -1, v12
	v_cmp_eq_u64_e32 vcc, v[10:11], v[38:39]
	v_cndmask_b32_e32 v10, 0, v12, vcc
	v_add_u32_e32 v10, v10, v50
	v_and_b32_e32 v10, 0x1fffff, v10
	v_add_co_u32_e32 v10, vcc, v10, v50
	v_add_u32_e32 v54, 14, v41
	v_addc_co_u32_e32 v11, vcc, 0, v51, vcc
	v_cmp_ne_u32_e32 vcc, 0, v54
                                        ; implicit-def: $vgpr23
	s_and_saveexec_b64 s[18:19], vcc
	s_xor_b64 s[18:19], exec, s[18:19]
; %bb.534:                              ;   in Loop: Header=BB0_282 Depth=3
	v_add_u32_e32 v12, 15, v41
	v_cmp_lt_u64_e32 vcc, s[42:43], v[10:11]
	v_cndmask_b32_e32 v23, v54, v12, vcc
	v_cndmask_b32_e64 v12, 0, 1, vcc
	v_lshrrev_b64 v[10:11], v12, v[10:11]
; %bb.535:                              ;   in Loop: Header=BB0_282 Depth=3
	s_andn2_saveexec_b64 s[18:19], s[18:19]
; %bb.536:                              ;   in Loop: Header=BB0_282 Depth=3
	v_bfe_u32 v23, v10, 23, 1
; %bb.537:                              ;   in Loop: Header=BB0_282 Depth=3
	s_or_b64 exec, exec, s[18:19]
	v_lshrrev_b64 v[10:11], 21, v[10:11]
	v_cmp_gt_i32_e32 vcc, 32, v23
	v_cndmask_b32_e32 v11, 0, v11, vcc
	v_cndmask_b32_e32 v10, 3, v10, vcc
	v_cmp_eq_u64_e64 s[18:19], 0, v[10:11]
	v_min_i32_e32 v11, 31, v23
	v_cmp_eq_u32_e32 vcc, 0, v23
	v_lshlrev_b32_e32 v11, 2, v11
	v_and_or_b32 v10, v10, 3, v11
	s_and_b64 s[18:19], vcc, s[18:19]
	v_cndmask_b32_e64 v10, v10, 0, s[18:19]
	v_or_b32_e32 v23, v10, v37
.LBB0_538:                              ;   in Loop: Header=BB0_282 Depth=3
	s_or_b64 exec, exec, s[52:53]
.LBB0_539:                              ;   in Loop: Header=BB0_282 Depth=3
	s_or_b64 exec, exec, s[50:51]
                                        ; implicit-def: $vgpr10
.LBB0_540:                              ;   in Loop: Header=BB0_282 Depth=3
	s_andn2_saveexec_b64 s[18:19], s[48:49]
; %bb.541:                              ;   in Loop: Header=BB0_282 Depth=3
	v_or_b32_sdwa v10, v10, s68 dst_sel:DWORD dst_unused:UNUSED_PAD src0_sel:BYTE_3 src1_sel:DWORD
	v_cmp_eq_u64_e32 vcc, 0, v[54:55]
	v_cndmask_b32_e32 v23, v10, v23, vcc
; %bb.542:                              ;   in Loop: Header=BB0_282 Depth=3
	s_or_b64 exec, exec, s[18:19]
	v_cmp_lt_u32_e32 vcc, s37, v16
	v_mov_b32_e32 v37, 0
	v_mov_b32_e32 v11, 0
	s_and_saveexec_b64 s[18:19], vcc
	s_cbranch_execz .LBB0_550
; %bb.543:                              ;   in Loop: Header=BB0_282 Depth=3
	v_lshrrev_b32_e32 v10, 24, v16
	v_cmp_ne_u32_e32 vcc, s66, v10
	v_bfrev_b32_e32 v11, 1
	s_and_saveexec_b64 s[48:49], vcc
	s_cbranch_execz .LBB0_549
; %bb.544:                              ;   in Loop: Header=BB0_282 Depth=3
	v_and_b32_e32 v11, 0x7c000000, v16
	v_bfe_u32 v54, v16, 24, 2
	v_cmp_ne_u32_e32 vcc, s70, v11
                                        ; implicit-def: $vgpr11
	s_and_saveexec_b64 s[50:51], vcc
	s_xor_b64 s[50:51], exec, s[50:51]
	s_cbranch_execz .LBB0_546
; %bb.545:                              ;   in Loop: Header=BB0_282 Depth=3
	v_ffbh_u32_e32 v11, v54
	v_min_u32_e32 v13, 32, v11
	v_subrev_u32_e32 v11, 29, v13
	v_bfe_u32 v12, v16, 26, 5
	v_lshlrev_b64 v[10:11], v11, v[10:11]
	v_sub_u32_e32 v11, 30, v13
	v_cmp_eq_u32_e32 vcc, 0, v12
	v_cndmask_b32_e32 v11, v12, v11, vcc
	v_and_b32_e32 v10, 3, v10
	v_lshl_add_u32 v11, v11, 23, v7
	v_cndmask_b32_e32 v10, v54, v10, vcc
	v_and_or_b32 v11, v16, s65, v11
	v_lshl_or_b32 v11, v10, 21, v11
                                        ; implicit-def: $vgpr54
.LBB0_546:                              ;   in Loop: Header=BB0_282 Depth=3
	s_andn2_saveexec_b64 s[50:51], s[50:51]
; %bb.547:                              ;   in Loop: Header=BB0_282 Depth=3
	v_cmp_lt_i32_e32 vcc, -1, v16
	v_cndmask_b32_e32 v10, v24, v25, vcc
	v_cmp_eq_u32_e32 vcc, 0, v54
	v_cndmask_b32_e32 v11, v6, v10, vcc
; %bb.548:                              ;   in Loop: Header=BB0_282 Depth=3
	s_or_b64 exec, exec, s[50:51]
.LBB0_549:                              ;   in Loop: Header=BB0_282 Depth=3
	s_or_b64 exec, exec, s[48:49]
.LBB0_550:                              ;   in Loop: Header=BB0_282 Depth=3
	s_or_b64 exec, exec, s[18:19]
	v_lshlrev_b32_e32 v16, 8, v27
	v_and_b32_e32 v54, 0xff00, v16
	v_cmp_ne_u32_e32 vcc, 0, v54
	s_and_saveexec_b64 s[18:19], vcc
	s_cbranch_execz .LBB0_558
; %bb.551:                              ;   in Loop: Header=BB0_282 Depth=3
	v_cmp_ne_u32_e32 vcc, s74, v54
	v_bfrev_b32_e32 v37, 1
	s_and_saveexec_b64 s[48:49], vcc
	s_cbranch_execz .LBB0_557
; %bb.552:                              ;   in Loop: Header=BB0_282 Depth=3
	v_and_or_b32 v2, v2, s62, v54
	v_and_b32_e32 v12, 0x7c, v27
	v_bfe_u32 v10, v54, 8, 2
	v_lshlrev_b32_e32 v2, 16, v2
	v_cmp_ne_u32_e32 vcc, s64, v12
                                        ; implicit-def: $vgpr37
	s_and_saveexec_b64 s[50:51], vcc
	s_xor_b64 s[50:51], exec, s[50:51]
	s_cbranch_execz .LBB0_554
; %bb.553:                              ;   in Loop: Header=BB0_282 Depth=3
	v_ffbh_u32_e32 v13, v10
	v_bfe_u32 v12, v16, 10, 5
	v_min_u32_e32 v13, 32, v13
	v_lshrrev_b32_e32 v38, 8, v54
	v_subrev_u32_e32 v14, 29, v13
	v_sub_u32_e32 v13, 30, v13
	v_cmp_eq_u32_e32 vcc, 0, v12
	v_lshlrev_b64 v[38:39], v14, v[38:39]
	v_cndmask_b32_e32 v12, v12, v13, vcc
	v_and_b32_e32 v14, 3, v38
	v_lshl_add_u32 v12, v12, 23, v7
	v_cndmask_b32_e32 v10, v10, v14, vcc
	v_and_or_b32 v2, v2, s65, v12
	v_lshl_or_b32 v37, v10, 21, v2
                                        ; implicit-def: $vgpr10
                                        ; implicit-def: $vgpr2
.LBB0_554:                              ;   in Loop: Header=BB0_282 Depth=3
	s_andn2_saveexec_b64 s[50:51], s[50:51]
; %bb.555:                              ;   in Loop: Header=BB0_282 Depth=3
	v_cmp_lt_i32_e32 vcc, -1, v2
	v_cndmask_b32_e32 v2, v24, v25, vcc
	v_cmp_eq_u32_e32 vcc, 0, v10
	v_cndmask_b32_e32 v37, v6, v2, vcc
; %bb.556:                              ;   in Loop: Header=BB0_282 Depth=3
	s_or_b64 exec, exec, s[50:51]
.LBB0_557:                              ;   in Loop: Header=BB0_282 Depth=3
	s_or_b64 exec, exec, s[48:49]
.LBB0_558:                              ;   in Loop: Header=BB0_282 Depth=3
	s_or_b64 exec, exec, s[18:19]
	v_add_f32_e32 v10, v11, v37
	v_and_b32_sdwa v2, v10, s66 dst_sel:DWORD dst_unused:UNUSED_PAD src0_sel:BYTE_3 src1_sel:DWORD
	v_and_b32_e32 v38, 0x7f800000, v10
	v_mov_b32_e32 v39, v55
	v_and_b32_e32 v54, 0x7fffff, v10
	v_or_b32_e32 v16, 0x7b, v2
	v_cmp_ne_u64_e32 vcc, s[38:39], v[38:39]
	s_and_saveexec_b64 s[18:19], vcc
	s_xor_b64 s[48:49], exec, s[18:19]
	s_cbranch_execz .LBB0_568
; %bb.559:                              ;   in Loop: Header=BB0_282 Depth=3
	v_and_b32_e32 v38, 0x7fffffff, v10
	v_mov_b32_e32 v39, v55
	v_cmp_gt_u64_e32 vcc, s[40:41], v[38:39]
	s_and_saveexec_b64 s[50:51], vcc
	s_cbranch_execz .LBB0_567
; %bb.560:                              ;   in Loop: Header=BB0_282 Depth=3
	v_cmp_ne_u32_e32 vcc, 0, v10
	v_mov_b32_e32 v16, 0
	s_and_saveexec_b64 s[52:53], vcc
	s_cbranch_execz .LBB0_566
; %bb.561:                              ;   in Loop: Header=BB0_282 Depth=3
	v_bfe_u32 v10, v10, 23, 8
	v_sub_u32_e32 v12, 0x71, v10
	v_cmp_gt_u32_e32 vcc, s67, v10
	v_cndmask_b32_e32 v12, 0, v12, vcc
	v_cmp_eq_u32_e32 vcc, 0, v10
	v_or_b32_e32 v13, 0x800000, v54
	v_cndmask_b32_e32 v12, v12, v49, vcc
	v_add_u32_e32 v11, 0xffffff81, v10
	v_cndmask_b32_e32 v54, v13, v54, vcc
	v_add_u32_e32 v10, 21, v12
	v_cndmask_b32_e32 v14, v11, v48, vcc
	v_lshlrev_b64 v[10:11], v10, -1
	v_add_u32_e32 v13, 20, v12
	v_lshrrev_b64 v[50:51], v12, v[54:55]
	v_not_b32_e32 v11, v11
	v_not_b32_e32 v10, v10
	v_lshlrev_b64 v[38:39], v13, 1
	v_lshrrev_b32_e32 v13, 23, v50
	v_and_b32_e32 v11, 0, v11
	v_and_b32_e32 v10, v54, v10
	v_add3_u32 v37, v12, v14, v13
	v_bfe_u32 v12, v50, 21, 1
	v_add_u32_e32 v12, -1, v12
	v_cmp_eq_u64_e32 vcc, v[10:11], v[38:39]
	v_cndmask_b32_e32 v10, 0, v12, vcc
	v_add_u32_e32 v10, v10, v50
	v_and_b32_e32 v10, 0x1fffff, v10
	v_add_co_u32_e32 v10, vcc, v10, v50
	v_add_u32_e32 v27, 14, v37
	v_addc_co_u32_e32 v11, vcc, 0, v51, vcc
	v_cmp_ne_u32_e32 vcc, 0, v27
                                        ; implicit-def: $vgpr16
	s_and_saveexec_b64 s[18:19], vcc
	s_xor_b64 s[18:19], exec, s[18:19]
; %bb.562:                              ;   in Loop: Header=BB0_282 Depth=3
	v_add_u32_e32 v12, 15, v37
	v_cmp_lt_u64_e32 vcc, s[42:43], v[10:11]
	v_cndmask_b32_e32 v16, v27, v12, vcc
	v_cndmask_b32_e64 v12, 0, 1, vcc
	v_lshrrev_b64 v[10:11], v12, v[10:11]
; %bb.563:                              ;   in Loop: Header=BB0_282 Depth=3
	s_andn2_saveexec_b64 s[18:19], s[18:19]
; %bb.564:                              ;   in Loop: Header=BB0_282 Depth=3
	v_bfe_u32 v16, v10, 23, 1
; %bb.565:                              ;   in Loop: Header=BB0_282 Depth=3
	s_or_b64 exec, exec, s[18:19]
	v_lshrrev_b64 v[10:11], 21, v[10:11]
	v_cmp_gt_i32_e32 vcc, 32, v16
	v_cndmask_b32_e32 v11, 0, v11, vcc
	v_cndmask_b32_e32 v10, 3, v10, vcc
	v_cmp_eq_u64_e64 s[18:19], 0, v[10:11]
	v_min_i32_e32 v11, 31, v16
	v_cmp_eq_u32_e32 vcc, 0, v16
	v_lshlrev_b32_e32 v11, 2, v11
	v_and_or_b32 v10, v10, 3, v11
	s_and_b64 s[18:19], vcc, s[18:19]
	v_cndmask_b32_e64 v10, v10, 0, s[18:19]
	v_or_b32_e32 v16, v10, v2
.LBB0_566:                              ;   in Loop: Header=BB0_282 Depth=3
	s_or_b64 exec, exec, s[52:53]
.LBB0_567:                              ;   in Loop: Header=BB0_282 Depth=3
	s_or_b64 exec, exec, s[50:51]
                                        ; implicit-def: $vgpr10
.LBB0_568:                              ;   in Loop: Header=BB0_282 Depth=3
	s_andn2_saveexec_b64 s[18:19], s[48:49]
; %bb.569:                              ;   in Loop: Header=BB0_282 Depth=3
	v_or_b32_sdwa v2, v10, s68 dst_sel:DWORD dst_unused:UNUSED_PAD src0_sel:BYTE_3 src1_sel:DWORD
	v_cmp_eq_u64_e32 vcc, 0, v[54:55]
	v_cndmask_b32_e32 v16, v2, v16, vcc
; %bb.570:                              ;   in Loop: Header=BB0_282 Depth=3
	s_or_b64 exec, exec, s[18:19]
	v_cmp_ne_u16_sdwa vcc, v18, v55 src0_sel:BYTE_0 src1_sel:DWORD
	v_mov_b32_e32 v11, 0
	v_mov_b32_e32 v10, 0
	s_and_saveexec_b64 s[18:19], vcc
	s_cbranch_execz .LBB0_578
; %bb.571:                              ;   in Loop: Header=BB0_282 Depth=3
	v_cmp_ne_u16_sdwa vcc, sext(v18), s63 src0_sel:BYTE_0 src1_sel:DWORD
	v_bfrev_b32_e32 v10, 1
	s_and_saveexec_b64 s[48:49], vcc
	s_cbranch_execz .LBB0_577
; %bb.572:                              ;   in Loop: Header=BB0_282 Depth=3
	v_and_b32_e32 v10, 0x7c, v18
	v_and_b32_e32 v2, 3, v18
	v_cmp_ne_u32_e32 vcc, s64, v10
                                        ; implicit-def: $vgpr10
	s_and_saveexec_b64 s[50:51], vcc
	s_xor_b64 s[50:51], exec, s[50:51]
	s_cbranch_execz .LBB0_574
; %bb.573:                              ;   in Loop: Header=BB0_282 Depth=3
	v_ffbh_u32_e32 v12, v2
	v_bfe_u32 v10, v18, 2, 5
	v_min_u32_e32 v12, 32, v12
	v_subrev_u32_e32 v13, 29, v12
	v_sub_u32_e32 v12, 30, v12
	v_cmp_eq_u32_e32 vcc, 0, v10
	v_lshlrev_b64 v[38:39], v13, v[18:19]
	v_cndmask_b32_e32 v10, v10, v12, vcc
	v_and_b32_e32 v13, 3, v38
	v_lshlrev_b32_e32 v12, 24, v18
	v_lshl_add_u32 v10, v10, 23, v7
	v_cndmask_b32_e32 v2, v2, v13, vcc
	v_and_or_b32 v10, v12, s65, v10
	v_lshl_or_b32 v10, v2, 21, v10
                                        ; implicit-def: $vgpr2
.LBB0_574:                              ;   in Loop: Header=BB0_282 Depth=3
	s_andn2_saveexec_b64 s[50:51], s[50:51]
; %bb.575:                              ;   in Loop: Header=BB0_282 Depth=3
	v_cmp_gt_i16_sdwa vcc, sext(v18), v47 src0_sel:BYTE_0 src1_sel:DWORD
	v_cndmask_b32_e32 v10, v24, v25, vcc
	v_cmp_eq_u32_e32 vcc, 0, v2
	v_cndmask_b32_e32 v10, v6, v10, vcc
; %bb.576:                              ;   in Loop: Header=BB0_282 Depth=3
	s_or_b64 exec, exec, s[50:51]
.LBB0_577:                              ;   in Loop: Header=BB0_282 Depth=3
	s_or_b64 exec, exec, s[48:49]
.LBB0_578:                              ;   in Loop: Header=BB0_282 Depth=3
	s_or_b64 exec, exec, s[18:19]
	v_lshlrev_b32_e32 v2, 8, v22
	v_lshlrev_b32_e32 v22, 24, v36
	v_perm_b32 v2, v2, v26, s71
	v_lshl_or_b32 v27, v1, 16, v22
	v_cmp_ne_u16_sdwa vcc, v26, v55 src0_sel:BYTE_0 src1_sel:DWORD
	s_and_saveexec_b64 s[18:19], vcc
	s_cbranch_execz .LBB0_586
; %bb.579:                              ;   in Loop: Header=BB0_282 Depth=3
	v_cmp_ne_u16_sdwa vcc, sext(v26), s63 src0_sel:BYTE_0 src1_sel:DWORD
	v_bfrev_b32_e32 v11, 1
	s_and_saveexec_b64 s[48:49], vcc
	s_cbranch_execz .LBB0_585
; %bb.580:                              ;   in Loop: Header=BB0_282 Depth=3
	v_and_b32_e32 v11, 0x7c, v26
	v_and_b32_e32 v19, 3, v26
	v_cmp_ne_u32_e32 vcc, s64, v11
                                        ; implicit-def: $vgpr11
	s_and_saveexec_b64 s[50:51], vcc
	s_xor_b64 s[50:51], exec, s[50:51]
	s_cbranch_execz .LBB0_582
; %bb.581:                              ;   in Loop: Header=BB0_282 Depth=3
	v_ffbh_u32_e32 v12, v19
	v_min_u32_e32 v12, 32, v12
	v_bfe_u32 v11, v26, 2, 5
	v_or_b32_e32 v36, v27, v2
	v_subrev_u32_e32 v13, 29, v12
	v_lshlrev_b64 v[36:37], v13, v[36:37]
	v_sub_u32_e32 v12, 30, v12
	v_cmp_eq_u32_e32 vcc, 0, v11
	v_and_b32_e32 v13, 3, v36
	v_cndmask_b32_e32 v11, v11, v12, vcc
	v_cndmask_b32_e32 v12, v19, v13, vcc
	v_lshlrev_b32_e32 v13, 24, v26
	v_lshl_add_u32 v11, v11, 23, v7
	v_and_or_b32 v11, v13, s65, v11
	v_lshl_or_b32 v11, v12, 21, v11
                                        ; implicit-def: $vgpr19
                                        ; implicit-def: $vgpr26
.LBB0_582:                              ;   in Loop: Header=BB0_282 Depth=3
	s_andn2_saveexec_b64 s[50:51], s[50:51]
; %bb.583:                              ;   in Loop: Header=BB0_282 Depth=3
	v_cmp_gt_i16_sdwa vcc, sext(v26), v47 src0_sel:BYTE_0 src1_sel:DWORD
	v_cndmask_b32_e32 v11, v24, v25, vcc
	v_cmp_eq_u32_e32 vcc, 0, v19
	v_cndmask_b32_e32 v11, v6, v11, vcc
; %bb.584:                              ;   in Loop: Header=BB0_282 Depth=3
	s_or_b64 exec, exec, s[50:51]
.LBB0_585:                              ;   in Loop: Header=BB0_282 Depth=3
	s_or_b64 exec, exec, s[48:49]
.LBB0_586:                              ;   in Loop: Header=BB0_282 Depth=3
	s_or_b64 exec, exec, s[18:19]
	v_add_f32_e32 v10, v10, v11
	v_and_b32_sdwa v26, v10, s66 dst_sel:DWORD dst_unused:UNUSED_PAD src0_sel:BYTE_3 src1_sel:DWORD
	v_and_b32_e32 v36, 0x7f800000, v10
	v_mov_b32_e32 v37, v55
	v_and_b32_e32 v54, 0x7fffff, v10
	v_or_b32_e32 v19, 0x7b, v26
	v_cmp_ne_u64_e32 vcc, s[38:39], v[36:37]
	s_and_saveexec_b64 s[18:19], vcc
	s_xor_b64 s[48:49], exec, s[18:19]
	s_cbranch_execz .LBB0_596
; %bb.587:                              ;   in Loop: Header=BB0_282 Depth=3
	v_and_b32_e32 v36, 0x7fffffff, v10
	v_mov_b32_e32 v37, v55
	v_cmp_gt_u64_e32 vcc, s[40:41], v[36:37]
	s_and_saveexec_b64 s[50:51], vcc
	s_cbranch_execz .LBB0_595
; %bb.588:                              ;   in Loop: Header=BB0_282 Depth=3
	v_cmp_ne_u32_e32 vcc, 0, v10
	v_mov_b32_e32 v19, 0
	s_and_saveexec_b64 s[52:53], vcc
	s_cbranch_execz .LBB0_594
; %bb.589:                              ;   in Loop: Header=BB0_282 Depth=3
	v_bfe_u32 v10, v10, 23, 8
	v_sub_u32_e32 v12, 0x71, v10
	v_cmp_gt_u32_e32 vcc, s67, v10
	v_cndmask_b32_e32 v12, 0, v12, vcc
	v_cmp_eq_u32_e32 vcc, 0, v10
	v_or_b32_e32 v13, 0x800000, v54
	v_cndmask_b32_e32 v12, v12, v49, vcc
	v_add_u32_e32 v11, 0xffffff81, v10
	v_cndmask_b32_e32 v54, v13, v54, vcc
	v_add_u32_e32 v10, 21, v12
	v_cndmask_b32_e32 v14, v11, v48, vcc
	v_lshlrev_b64 v[10:11], v10, -1
	v_add_u32_e32 v13, 20, v12
	v_lshrrev_b64 v[50:51], v12, v[54:55]
	v_not_b32_e32 v11, v11
	v_not_b32_e32 v10, v10
	v_lshlrev_b64 v[38:39], v13, 1
	v_lshrrev_b32_e32 v13, 23, v50
	v_and_b32_e32 v11, 0, v11
	v_and_b32_e32 v10, v54, v10
	v_add3_u32 v37, v12, v14, v13
	v_bfe_u32 v12, v50, 21, 1
	v_add_u32_e32 v12, -1, v12
	v_cmp_eq_u64_e32 vcc, v[10:11], v[38:39]
	v_cndmask_b32_e32 v10, 0, v12, vcc
	v_add_u32_e32 v10, v10, v50
	v_and_b32_e32 v10, 0x1fffff, v10
	v_add_co_u32_e32 v10, vcc, v10, v50
	v_add_u32_e32 v36, 14, v37
	v_addc_co_u32_e32 v11, vcc, 0, v51, vcc
	v_cmp_ne_u32_e32 vcc, 0, v36
                                        ; implicit-def: $vgpr19
	s_and_saveexec_b64 s[18:19], vcc
	s_xor_b64 s[18:19], exec, s[18:19]
; %bb.590:                              ;   in Loop: Header=BB0_282 Depth=3
	v_add_u32_e32 v12, 15, v37
	v_cmp_lt_u64_e32 vcc, s[42:43], v[10:11]
	v_cndmask_b32_e32 v19, v36, v12, vcc
	v_cndmask_b32_e64 v12, 0, 1, vcc
	v_lshrrev_b64 v[10:11], v12, v[10:11]
; %bb.591:                              ;   in Loop: Header=BB0_282 Depth=3
	s_andn2_saveexec_b64 s[18:19], s[18:19]
; %bb.592:                              ;   in Loop: Header=BB0_282 Depth=3
	v_bfe_u32 v19, v10, 23, 1
; %bb.593:                              ;   in Loop: Header=BB0_282 Depth=3
	s_or_b64 exec, exec, s[18:19]
	v_lshrrev_b64 v[10:11], 21, v[10:11]
	v_cmp_gt_i32_e32 vcc, 32, v19
	v_cndmask_b32_e32 v11, 0, v11, vcc
	v_cndmask_b32_e32 v10, 3, v10, vcc
	v_cmp_eq_u64_e64 s[18:19], 0, v[10:11]
	v_min_i32_e32 v11, 31, v19
	v_cmp_eq_u32_e32 vcc, 0, v19
	v_lshlrev_b32_e32 v11, 2, v11
	v_and_or_b32 v10, v10, 3, v11
	s_and_b64 s[18:19], vcc, s[18:19]
	v_cndmask_b32_e64 v10, v10, 0, s[18:19]
	v_or_b32_e32 v19, v10, v26
.LBB0_594:                              ;   in Loop: Header=BB0_282 Depth=3
	s_or_b64 exec, exec, s[52:53]
.LBB0_595:                              ;   in Loop: Header=BB0_282 Depth=3
	s_or_b64 exec, exec, s[50:51]
                                        ; implicit-def: $vgpr10
.LBB0_596:                              ;   in Loop: Header=BB0_282 Depth=3
	s_andn2_saveexec_b64 s[18:19], s[48:49]
; %bb.597:                              ;   in Loop: Header=BB0_282 Depth=3
	v_or_b32_sdwa v10, v10, s68 dst_sel:DWORD dst_unused:UNUSED_PAD src0_sel:BYTE_3 src1_sel:DWORD
	v_cmp_eq_u64_e32 vcc, 0, v[54:55]
	v_cndmask_b32_e32 v19, v10, v19, vcc
; %bb.598:                              ;   in Loop: Header=BB0_282 Depth=3
	s_or_b64 exec, exec, s[18:19]
	v_lshrrev_b16_e32 v54, 8, v18
	v_cmp_ne_u16_e32 vcc, 0, v54
	v_mov_b32_e32 v10, 0
	v_mov_b32_e32 v11, 0
	s_and_saveexec_b64 s[18:19], vcc
	s_cbranch_execz .LBB0_606
; %bb.599:                              ;   in Loop: Header=BB0_282 Depth=3
	v_cmp_ne_u16_e32 vcc, s66, v54
	v_bfrev_b32_e32 v11, 1
	s_and_saveexec_b64 s[48:49], vcc
	s_cbranch_execz .LBB0_605
; %bb.600:                              ;   in Loop: Header=BB0_282 Depth=3
	v_and_b32_e32 v11, 0x7c, v54
	v_and_b32_e32 v26, 3, v54
	v_cmp_ne_u32_e32 vcc, s64, v11
                                        ; implicit-def: $vgpr11
	s_and_saveexec_b64 s[50:51], vcc
	s_xor_b64 s[50:51], exec, s[50:51]
	s_cbranch_execz .LBB0_602
; %bb.601:                              ;   in Loop: Header=BB0_282 Depth=3
	v_ffbh_u32_e32 v12, v26
	v_min_u32_e32 v12, 32, v12
	v_bfe_u32 v11, v54, 2, 5
	v_subrev_u32_e32 v13, 29, v12
	v_lshlrev_b64 v[36:37], v13, v[54:55]
	v_sub_u32_e32 v12, 30, v12
	v_cmp_eq_u32_e32 vcc, 0, v11
	v_and_b32_e32 v13, 3, v36
	v_cndmask_b32_e32 v11, v11, v12, vcc
	v_cndmask_b32_e32 v12, v26, v13, vcc
	v_lshlrev_b32_e32 v13, 16, v18
	v_lshl_add_u32 v11, v11, 23, v7
	v_and_or_b32 v11, v13, s65, v11
	v_lshl_or_b32 v11, v12, 21, v11
                                        ; implicit-def: $vgpr26
.LBB0_602:                              ;   in Loop: Header=BB0_282 Depth=3
	s_andn2_saveexec_b64 s[50:51], s[50:51]
; %bb.603:                              ;   in Loop: Header=BB0_282 Depth=3
	v_cmp_lt_i16_e32 vcc, -1, v18
	v_cndmask_b32_e32 v11, v24, v25, vcc
	v_cmp_eq_u32_e32 vcc, 0, v26
	v_cndmask_b32_e32 v11, v6, v11, vcc
; %bb.604:                              ;   in Loop: Header=BB0_282 Depth=3
	s_or_b64 exec, exec, s[50:51]
.LBB0_605:                              ;   in Loop: Header=BB0_282 Depth=3
	s_or_b64 exec, exec, s[48:49]
.LBB0_606:                              ;   in Loop: Header=BB0_282 Depth=3
	s_or_b64 exec, exec, s[18:19]
	v_lshrrev_b16_e32 v54, 8, v2
	v_cmp_ne_u16_e32 vcc, 0, v54
	s_and_saveexec_b64 s[18:19], vcc
	s_cbranch_execz .LBB0_614
; %bb.607:                              ;   in Loop: Header=BB0_282 Depth=3
	v_cmp_ne_u16_e32 vcc, s66, v54
	v_bfrev_b32_e32 v10, 1
	s_and_saveexec_b64 s[48:49], vcc
	s_cbranch_execz .LBB0_613
; %bb.608:                              ;   in Loop: Header=BB0_282 Depth=3
	v_and_b32_e32 v10, 0x7c, v54
	v_and_b32_e32 v26, 3, v54
	v_cmp_ne_u32_e32 vcc, s64, v10
                                        ; implicit-def: $vgpr10
	s_and_saveexec_b64 s[50:51], vcc
	s_xor_b64 s[50:51], exec, s[50:51]
	s_cbranch_execz .LBB0_610
; %bb.609:                              ;   in Loop: Header=BB0_282 Depth=3
	v_ffbh_u32_e32 v12, v26
	v_bfe_u32 v10, v54, 2, 5
	v_min_u32_e32 v12, 32, v12
	v_subrev_u32_e32 v13, 29, v12
	v_sub_u32_e32 v12, 30, v12
	v_cmp_eq_u32_e32 vcc, 0, v10
	v_lshlrev_b64 v[36:37], v13, v[54:55]
	v_cndmask_b32_e32 v10, v10, v12, vcc
	v_and_b32_e32 v13, 3, v36
	v_lshlrev_b32_e32 v2, 16, v2
	v_lshl_add_u32 v10, v10, 23, v7
	v_cndmask_b32_e32 v12, v26, v13, vcc
	v_and_or_b32 v2, v2, s65, v10
	v_lshl_or_b32 v10, v12, 21, v2
                                        ; implicit-def: $vgpr26
                                        ; implicit-def: $vgpr2
.LBB0_610:                              ;   in Loop: Header=BB0_282 Depth=3
	s_andn2_saveexec_b64 s[50:51], s[50:51]
; %bb.611:                              ;   in Loop: Header=BB0_282 Depth=3
	v_cmp_lt_i16_e32 vcc, -1, v2
	v_cndmask_b32_e32 v2, v24, v25, vcc
	v_cmp_eq_u32_e32 vcc, 0, v26
	v_cndmask_b32_e32 v10, v6, v2, vcc
; %bb.612:                              ;   in Loop: Header=BB0_282 Depth=3
	s_or_b64 exec, exec, s[50:51]
.LBB0_613:                              ;   in Loop: Header=BB0_282 Depth=3
	s_or_b64 exec, exec, s[48:49]
.LBB0_614:                              ;   in Loop: Header=BB0_282 Depth=3
	s_or_b64 exec, exec, s[18:19]
	v_add_f32_e32 v10, v11, v10
	v_and_b32_sdwa v2, v10, s66 dst_sel:DWORD dst_unused:UNUSED_PAD src0_sel:BYTE_3 src1_sel:DWORD
	v_and_b32_e32 v36, 0x7f800000, v10
	v_mov_b32_e32 v37, v55
	v_and_b32_e32 v54, 0x7fffff, v10
	v_or_b32_e32 v26, 0x7b, v2
	v_cmp_ne_u64_e32 vcc, s[38:39], v[36:37]
	s_and_saveexec_b64 s[18:19], vcc
	s_xor_b64 s[48:49], exec, s[18:19]
	s_cbranch_execz .LBB0_624
; %bb.615:                              ;   in Loop: Header=BB0_282 Depth=3
	v_and_b32_e32 v36, 0x7fffffff, v10
	v_mov_b32_e32 v37, v55
	v_cmp_gt_u64_e32 vcc, s[40:41], v[36:37]
	s_and_saveexec_b64 s[50:51], vcc
	s_cbranch_execz .LBB0_623
; %bb.616:                              ;   in Loop: Header=BB0_282 Depth=3
	v_cmp_ne_u32_e32 vcc, 0, v10
	v_mov_b32_e32 v26, 0
	s_and_saveexec_b64 s[52:53], vcc
	s_cbranch_execz .LBB0_622
; %bb.617:                              ;   in Loop: Header=BB0_282 Depth=3
	v_bfe_u32 v10, v10, 23, 8
	v_sub_u32_e32 v12, 0x71, v10
	v_cmp_gt_u32_e32 vcc, s67, v10
	v_cndmask_b32_e32 v12, 0, v12, vcc
	v_cmp_eq_u32_e32 vcc, 0, v10
	v_or_b32_e32 v13, 0x800000, v54
	v_cndmask_b32_e32 v12, v12, v49, vcc
	v_add_u32_e32 v11, 0xffffff81, v10
	v_cndmask_b32_e32 v54, v13, v54, vcc
	v_add_u32_e32 v10, 21, v12
	v_cndmask_b32_e32 v14, v11, v48, vcc
	v_lshlrev_b64 v[10:11], v10, -1
	v_add_u32_e32 v13, 20, v12
	v_lshrrev_b64 v[50:51], v12, v[54:55]
	v_not_b32_e32 v11, v11
	v_not_b32_e32 v10, v10
	v_lshlrev_b64 v[38:39], v13, 1
	v_lshrrev_b32_e32 v13, 23, v50
	v_and_b32_e32 v11, 0, v11
	v_and_b32_e32 v10, v54, v10
	v_add3_u32 v37, v12, v14, v13
	v_bfe_u32 v12, v50, 21, 1
	v_add_u32_e32 v12, -1, v12
	v_cmp_eq_u64_e32 vcc, v[10:11], v[38:39]
	v_cndmask_b32_e32 v10, 0, v12, vcc
	v_add_u32_e32 v10, v10, v50
	v_and_b32_e32 v10, 0x1fffff, v10
	v_add_co_u32_e32 v10, vcc, v10, v50
	v_add_u32_e32 v36, 14, v37
	v_addc_co_u32_e32 v11, vcc, 0, v51, vcc
	v_cmp_ne_u32_e32 vcc, 0, v36
                                        ; implicit-def: $vgpr26
	s_and_saveexec_b64 s[18:19], vcc
	s_xor_b64 s[18:19], exec, s[18:19]
; %bb.618:                              ;   in Loop: Header=BB0_282 Depth=3
	v_add_u32_e32 v12, 15, v37
	v_cmp_lt_u64_e32 vcc, s[42:43], v[10:11]
	v_cndmask_b32_e32 v26, v36, v12, vcc
	v_cndmask_b32_e64 v12, 0, 1, vcc
	v_lshrrev_b64 v[10:11], v12, v[10:11]
; %bb.619:                              ;   in Loop: Header=BB0_282 Depth=3
	s_andn2_saveexec_b64 s[18:19], s[18:19]
; %bb.620:                              ;   in Loop: Header=BB0_282 Depth=3
	v_bfe_u32 v26, v10, 23, 1
; %bb.621:                              ;   in Loop: Header=BB0_282 Depth=3
	s_or_b64 exec, exec, s[18:19]
	v_lshrrev_b64 v[10:11], 21, v[10:11]
	v_cmp_gt_i32_e32 vcc, 32, v26
	v_cndmask_b32_e32 v11, 0, v11, vcc
	v_cndmask_b32_e32 v10, 3, v10, vcc
	v_cmp_eq_u64_e64 s[18:19], 0, v[10:11]
	v_min_i32_e32 v11, 31, v26
	v_cmp_eq_u32_e32 vcc, 0, v26
	v_lshlrev_b32_e32 v11, 2, v11
	v_and_or_b32 v10, v10, 3, v11
	s_and_b64 s[18:19], vcc, s[18:19]
	v_cndmask_b32_e64 v10, v10, 0, s[18:19]
	v_or_b32_e32 v26, v10, v2
.LBB0_622:                              ;   in Loop: Header=BB0_282 Depth=3
	s_or_b64 exec, exec, s[52:53]
.LBB0_623:                              ;   in Loop: Header=BB0_282 Depth=3
	s_or_b64 exec, exec, s[50:51]
                                        ; implicit-def: $vgpr10
.LBB0_624:                              ;   in Loop: Header=BB0_282 Depth=3
	s_andn2_saveexec_b64 s[18:19], s[48:49]
; %bb.625:                              ;   in Loop: Header=BB0_282 Depth=3
	v_or_b32_sdwa v2, v10, s68 dst_sel:DWORD dst_unused:UNUSED_PAD src0_sel:BYTE_3 src1_sel:DWORD
	v_cmp_eq_u64_e32 vcc, 0, v[54:55]
	v_cndmask_b32_e32 v26, v2, v26, vcc
; %bb.626:                              ;   in Loop: Header=BB0_282 Depth=3
	s_or_b64 exec, exec, s[18:19]
	v_lshrrev_b32_e32 v2, 16, v18
	v_cmp_ne_u16_sdwa vcc, v2, v55 src0_sel:BYTE_0 src1_sel:DWORD
	v_mov_b32_e32 v10, 0
	v_mov_b32_e32 v11, 0
	s_and_saveexec_b64 s[18:19], vcc
	s_cbranch_execz .LBB0_634
; %bb.627:                              ;   in Loop: Header=BB0_282 Depth=3
	v_cmp_ne_u16_sdwa vcc, v2, s66 src0_sel:BYTE_0 src1_sel:DWORD
	v_bfrev_b32_e32 v11, 1
	s_and_saveexec_b64 s[48:49], vcc
	s_cbranch_execz .LBB0_633
; %bb.628:                              ;   in Loop: Header=BB0_282 Depth=3
	v_and_b32_e32 v11, 0x7c0000, v18
	v_bfe_u32 v36, v18, 16, 2
	v_cmp_ne_u32_e32 vcc, s69, v11
                                        ; implicit-def: $vgpr11
	s_and_saveexec_b64 s[50:51], vcc
	s_xor_b64 s[50:51], exec, s[50:51]
	s_cbranch_execz .LBB0_630
; %bb.629:                              ;   in Loop: Header=BB0_282 Depth=3
	v_ffbh_u32_e32 v12, v36
	v_min_u32_e32 v12, 32, v12
	v_bfe_u32 v11, v18, 18, 5
	v_subrev_u32_e32 v13, 29, v12
	v_lshlrev_b64 v[38:39], v13, v[2:3]
	v_sub_u32_e32 v2, 30, v12
	v_cmp_eq_u32_e32 vcc, 0, v11
	v_and_b32_e32 v12, 3, v38
	v_cndmask_b32_e32 v2, v11, v2, vcc
	v_cndmask_b32_e32 v11, v36, v12, vcc
	v_lshlrev_b32_e32 v12, 8, v18
	v_lshl_add_u32 v2, v2, 23, v7
	v_and_or_b32 v2, v12, s65, v2
	v_lshl_or_b32 v11, v11, 21, v2
                                        ; implicit-def: $vgpr36
                                        ; implicit-def: $vgpr2
.LBB0_630:                              ;   in Loop: Header=BB0_282 Depth=3
	s_andn2_saveexec_b64 s[50:51], s[50:51]
; %bb.631:                              ;   in Loop: Header=BB0_282 Depth=3
	v_cmp_gt_i16_sdwa vcc, sext(v2), v47 src0_sel:BYTE_0 src1_sel:DWORD
	v_cndmask_b32_e32 v2, v24, v25, vcc
	v_cmp_eq_u32_e32 vcc, 0, v36
	v_cndmask_b32_e32 v11, v6, v2, vcc
; %bb.632:                              ;   in Loop: Header=BB0_282 Depth=3
	s_or_b64 exec, exec, s[50:51]
.LBB0_633:                              ;   in Loop: Header=BB0_282 Depth=3
	s_or_b64 exec, exec, s[48:49]
.LBB0_634:                              ;   in Loop: Header=BB0_282 Depth=3
	s_or_b64 exec, exec, s[18:19]
	v_lshrrev_b32_e32 v2, 16, v27
	v_cmp_ne_u16_sdwa vcc, v2, v55 src0_sel:BYTE_0 src1_sel:DWORD
	s_and_saveexec_b64 s[18:19], vcc
	s_cbranch_execz .LBB0_642
; %bb.635:                              ;   in Loop: Header=BB0_282 Depth=3
	v_cmp_ne_u16_sdwa vcc, v2, s66 src0_sel:BYTE_0 src1_sel:DWORD
	v_bfrev_b32_e32 v10, 1
	s_and_saveexec_b64 s[48:49], vcc
	s_cbranch_execz .LBB0_641
; %bb.636:                              ;   in Loop: Header=BB0_282 Depth=3
	v_and_b32_e32 v10, 0x7c, v1
	v_bfe_u32 v36, v27, 16, 2
	v_cmp_ne_u32_e32 vcc, s64, v10
                                        ; implicit-def: $vgpr10
	s_and_saveexec_b64 s[50:51], vcc
	s_xor_b64 s[50:51], exec, s[50:51]
	s_cbranch_execz .LBB0_638
; %bb.637:                              ;   in Loop: Header=BB0_282 Depth=3
	v_ffbh_u32_e32 v12, v36
	v_min_u32_e32 v12, 32, v12
	v_bfe_u32 v10, v1, 2, 5
	v_subrev_u32_e32 v13, 29, v12
	v_lshlrev_b64 v[38:39], v13, v[2:3]
	v_sub_u32_e32 v2, 30, v12
	v_cmp_eq_u32_e32 vcc, 0, v10
	v_cndmask_b32_e32 v2, v10, v2, vcc
	v_and_b32_e32 v12, 3, v38
	v_lshlrev_b32_e32 v1, 24, v1
	v_lshl_add_u32 v2, v2, 23, v7
	v_cndmask_b32_e32 v10, v36, v12, vcc
	v_and_or_b32 v1, v1, s65, v2
	v_lshl_or_b32 v10, v10, 21, v1
                                        ; implicit-def: $vgpr36
                                        ; implicit-def: $vgpr2
.LBB0_638:                              ;   in Loop: Header=BB0_282 Depth=3
	s_andn2_saveexec_b64 s[50:51], s[50:51]
; %bb.639:                              ;   in Loop: Header=BB0_282 Depth=3
	v_cmp_gt_i16_sdwa vcc, sext(v2), v47 src0_sel:BYTE_0 src1_sel:DWORD
	v_cndmask_b32_e32 v1, v24, v25, vcc
	v_cmp_eq_u32_e32 vcc, 0, v36
	v_cndmask_b32_e32 v10, v6, v1, vcc
; %bb.640:                              ;   in Loop: Header=BB0_282 Depth=3
	s_or_b64 exec, exec, s[50:51]
.LBB0_641:                              ;   in Loop: Header=BB0_282 Depth=3
	s_or_b64 exec, exec, s[48:49]
.LBB0_642:                              ;   in Loop: Header=BB0_282 Depth=3
	s_or_b64 exec, exec, s[18:19]
	v_add_f32_e32 v10, v11, v10
	v_and_b32_sdwa v2, v10, s66 dst_sel:DWORD dst_unused:UNUSED_PAD src0_sel:BYTE_3 src1_sel:DWORD
	v_and_b32_e32 v36, 0x7f800000, v10
	v_mov_b32_e32 v37, v55
	v_and_b32_e32 v54, 0x7fffff, v10
	v_or_b32_e32 v1, 0x7b, v2
	v_cmp_ne_u64_e32 vcc, s[38:39], v[36:37]
	s_and_saveexec_b64 s[18:19], vcc
	s_xor_b64 s[48:49], exec, s[18:19]
	s_cbranch_execz .LBB0_652
; %bb.643:                              ;   in Loop: Header=BB0_282 Depth=3
	v_and_b32_e32 v36, 0x7fffffff, v10
	v_mov_b32_e32 v37, v55
	v_cmp_gt_u64_e32 vcc, s[40:41], v[36:37]
	s_and_saveexec_b64 s[50:51], vcc
	s_cbranch_execz .LBB0_651
; %bb.644:                              ;   in Loop: Header=BB0_282 Depth=3
	v_cmp_ne_u32_e32 vcc, 0, v10
	v_mov_b32_e32 v1, 0
	s_and_saveexec_b64 s[52:53], vcc
	s_cbranch_execz .LBB0_650
; %bb.645:                              ;   in Loop: Header=BB0_282 Depth=3
	v_bfe_u32 v1, v10, 23, 8
	v_sub_u32_e32 v11, 0x71, v1
	v_cmp_gt_u32_e32 vcc, s67, v1
	v_cndmask_b32_e32 v11, 0, v11, vcc
	v_cmp_eq_u32_e32 vcc, 0, v1
	v_add_u32_e32 v10, 0xffffff81, v1
	v_or_b32_e32 v12, 0x800000, v54
	v_cndmask_b32_e32 v13, v11, v49, vcc
	v_cndmask_b32_e32 v1, v10, v48, vcc
	;; [unrolled: 1-line block ×3, first 2 shown]
	v_add_u32_e32 v10, 21, v13
	v_lshlrev_b64 v[10:11], v10, -1
	v_add_u32_e32 v12, 20, v13
	v_lshrrev_b64 v[50:51], v13, v[54:55]
	v_not_b32_e32 v11, v11
	v_not_b32_e32 v10, v10
	v_lshlrev_b64 v[38:39], v12, 1
	v_lshrrev_b32_e32 v12, 23, v50
	v_and_b32_e32 v11, 0, v11
	v_and_b32_e32 v10, v54, v10
	v_add3_u32 v37, v13, v1, v12
	v_bfe_u32 v1, v50, 21, 1
	v_add_u32_e32 v1, -1, v1
	v_cmp_eq_u64_e32 vcc, v[10:11], v[38:39]
	v_cndmask_b32_e32 v1, 0, v1, vcc
	v_add_u32_e32 v1, v1, v50
	v_and_b32_e32 v1, 0x1fffff, v1
	v_add_co_u32_e32 v10, vcc, v1, v50
	v_add_u32_e32 v36, 14, v37
	v_addc_co_u32_e32 v11, vcc, 0, v51, vcc
	v_cmp_ne_u32_e32 vcc, 0, v36
                                        ; implicit-def: $vgpr1
	s_and_saveexec_b64 s[18:19], vcc
	s_xor_b64 s[18:19], exec, s[18:19]
; %bb.646:                              ;   in Loop: Header=BB0_282 Depth=3
	v_cmp_lt_u64_e32 vcc, s[42:43], v[10:11]
	v_add_u32_e32 v1, 15, v37
	v_cndmask_b32_e64 v12, 0, 1, vcc
	v_cndmask_b32_e32 v1, v36, v1, vcc
	v_lshrrev_b64 v[10:11], v12, v[10:11]
; %bb.647:                              ;   in Loop: Header=BB0_282 Depth=3
	s_andn2_saveexec_b64 s[18:19], s[18:19]
; %bb.648:                              ;   in Loop: Header=BB0_282 Depth=3
	v_bfe_u32 v1, v10, 23, 1
; %bb.649:                              ;   in Loop: Header=BB0_282 Depth=3
	s_or_b64 exec, exec, s[18:19]
	v_lshrrev_b64 v[10:11], 21, v[10:11]
	v_cmp_gt_i32_e32 vcc, 32, v1
	v_cndmask_b32_e32 v11, 0, v11, vcc
	v_cndmask_b32_e32 v10, 3, v10, vcc
	v_cmp_eq_u32_e32 vcc, 0, v1
	v_min_i32_e32 v1, 31, v1
	v_lshlrev_b32_e32 v1, 2, v1
	v_cmp_eq_u64_e64 s[18:19], 0, v[10:11]
	v_and_b32_e32 v1, 0xfc, v1
	v_and_or_b32 v1, v10, 3, v1
	s_and_b64 s[18:19], vcc, s[18:19]
	v_cndmask_b32_e64 v1, v1, 0, s[18:19]
	v_or_b32_e32 v1, v1, v2
.LBB0_650:                              ;   in Loop: Header=BB0_282 Depth=3
	s_or_b64 exec, exec, s[52:53]
.LBB0_651:                              ;   in Loop: Header=BB0_282 Depth=3
	s_or_b64 exec, exec, s[50:51]
                                        ; implicit-def: $vgpr10
.LBB0_652:                              ;   in Loop: Header=BB0_282 Depth=3
	s_andn2_saveexec_b64 s[18:19], s[48:49]
; %bb.653:                              ;   in Loop: Header=BB0_282 Depth=3
	v_or_b32_sdwa v2, v10, s68 dst_sel:DWORD dst_unused:UNUSED_PAD src0_sel:BYTE_3 src1_sel:DWORD
	v_cmp_eq_u64_e32 vcc, 0, v[54:55]
	v_cndmask_b32_e32 v1, v2, v1, vcc
; %bb.654:                              ;   in Loop: Header=BB0_282 Depth=3
	s_or_b64 exec, exec, s[18:19]
	v_mov_b32_e32 v10, v55
	v_mov_b32_e32 v11, v18
	v_cmp_lt_u64_e32 vcc, s[36:37], v[10:11]
	v_mov_b32_e32 v36, 0
	v_mov_b32_e32 v37, 0
	s_and_saveexec_b64 s[18:19], vcc
	s_cbranch_execz .LBB0_662
; %bb.655:                              ;   in Loop: Header=BB0_282 Depth=3
	v_lshrrev_b32_e32 v2, 24, v18
	v_cmp_ne_u32_e32 vcc, s66, v2
	v_bfrev_b32_e32 v37, 1
	s_and_saveexec_b64 s[48:49], vcc
	s_cbranch_execz .LBB0_661
; %bb.656:                              ;   in Loop: Header=BB0_282 Depth=3
	v_and_b32_e32 v12, 0x7c000000, v18
	v_bfe_u32 v54, v18, 24, 2
	v_cmp_ne_u32_e32 vcc, s70, v12
                                        ; implicit-def: $vgpr37
	s_and_saveexec_b64 s[50:51], vcc
	s_xor_b64 s[50:51], exec, s[50:51]
	s_cbranch_execz .LBB0_658
; %bb.657:                              ;   in Loop: Header=BB0_282 Depth=3
	v_ffbh_u32_e32 v10, v54
	v_min_u32_e32 v13, 32, v10
	v_bfe_u32 v12, v18, 26, 5
	v_subrev_u32_e32 v10, 29, v13
	v_lshlrev_b64 v[10:11], v10, v[2:3]
	v_sub_u32_e32 v2, 30, v13
	v_cmp_eq_u32_e32 vcc, 0, v12
	v_cndmask_b32_e32 v2, v12, v2, vcc
	v_and_b32_e32 v10, 3, v10
	v_lshl_add_u32 v2, v2, 23, v7
	v_cndmask_b32_e32 v10, v54, v10, vcc
	v_and_or_b32 v2, v18, s65, v2
	v_lshl_or_b32 v37, v10, 21, v2
                                        ; implicit-def: $vgpr54
                                        ; implicit-def: $vgpr10_vgpr11
.LBB0_658:                              ;   in Loop: Header=BB0_282 Depth=3
	s_andn2_saveexec_b64 s[50:51], s[50:51]
; %bb.659:                              ;   in Loop: Header=BB0_282 Depth=3
	v_cmp_lt_i64_e32 vcc, -1, v[10:11]
	v_cndmask_b32_e32 v2, v24, v25, vcc
	v_cmp_eq_u32_e32 vcc, 0, v54
	v_cndmask_b32_e32 v37, v6, v2, vcc
; %bb.660:                              ;   in Loop: Header=BB0_282 Depth=3
	s_or_b64 exec, exec, s[50:51]
.LBB0_661:                              ;   in Loop: Header=BB0_282 Depth=3
	s_or_b64 exec, exec, s[48:49]
.LBB0_662:                              ;   in Loop: Header=BB0_282 Depth=3
	s_or_b64 exec, exec, s[18:19]
	v_cmp_lt_u32_e32 vcc, s37, v27
	s_and_saveexec_b64 s[18:19], vcc
	s_cbranch_execz .LBB0_670
; %bb.663:                              ;   in Loop: Header=BB0_282 Depth=3
	v_lshrrev_b32_e32 v2, 24, v27
	v_cmp_ne_u32_e32 vcc, s66, v2
	v_bfrev_b32_e32 v36, 1
	s_and_saveexec_b64 s[48:49], vcc
	s_cbranch_execz .LBB0_669
; %bb.664:                              ;   in Loop: Header=BB0_282 Depth=3
	v_and_b32_e32 v11, 0x7c000000, v27
	v_bfe_u32 v10, v27, 24, 2
	v_cmp_ne_u32_e32 vcc, s70, v11
                                        ; implicit-def: $vgpr36
	s_and_saveexec_b64 s[50:51], vcc
	s_xor_b64 s[50:51], exec, s[50:51]
	s_cbranch_execz .LBB0_666
; %bb.665:                              ;   in Loop: Header=BB0_282 Depth=3
	v_ffbh_u32_e32 v12, v10
	v_min_u32_e32 v12, 32, v12
	v_bfe_u32 v11, v27, 26, 5
	v_subrev_u32_e32 v13, 29, v12
	v_lshlrev_b64 v[38:39], v13, v[2:3]
	v_sub_u32_e32 v2, 30, v12
	v_cmp_eq_u32_e32 vcc, 0, v11
	v_cndmask_b32_e32 v2, v11, v2, vcc
	v_and_b32_e32 v12, 3, v38
	v_lshl_add_u32 v2, v2, 23, v7
	v_cndmask_b32_e32 v10, v10, v12, vcc
	v_and_or_b32 v2, v22, s65, v2
	v_lshl_or_b32 v36, v10, 21, v2
                                        ; implicit-def: $vgpr10
                                        ; implicit-def: $vgpr22
.LBB0_666:                              ;   in Loop: Header=BB0_282 Depth=3
	s_andn2_saveexec_b64 s[50:51], s[50:51]
; %bb.667:                              ;   in Loop: Header=BB0_282 Depth=3
	v_cmp_lt_i32_e32 vcc, -1, v22
	v_cndmask_b32_e32 v2, v24, v25, vcc
	v_cmp_eq_u32_e32 vcc, 0, v10
	v_cndmask_b32_e32 v36, v6, v2, vcc
; %bb.668:                              ;   in Loop: Header=BB0_282 Depth=3
	s_or_b64 exec, exec, s[50:51]
.LBB0_669:                              ;   in Loop: Header=BB0_282 Depth=3
	s_or_b64 exec, exec, s[48:49]
.LBB0_670:                              ;   in Loop: Header=BB0_282 Depth=3
	s_or_b64 exec, exec, s[18:19]
	v_add_f32_e32 v11, v37, v36
	v_and_b32_sdwa v2, v11, s66 dst_sel:DWORD dst_unused:UNUSED_PAD src0_sel:BYTE_3 src1_sel:DWORD
	v_and_b32_e32 v36, 0x7f800000, v11
	v_mov_b32_e32 v37, v55
	v_and_b32_e32 v54, 0x7fffff, v11
	v_or_b32_e32 v10, 0x7b, v2
	v_cmp_ne_u64_e32 vcc, s[38:39], v[36:37]
	s_and_saveexec_b64 s[18:19], vcc
	s_xor_b64 s[48:49], exec, s[18:19]
	s_cbranch_execz .LBB0_680
; %bb.671:                              ;   in Loop: Header=BB0_282 Depth=3
	v_and_b32_e32 v36, 0x7fffffff, v11
	v_mov_b32_e32 v37, v55
	v_cmp_gt_u64_e32 vcc, s[40:41], v[36:37]
	s_and_saveexec_b64 s[50:51], vcc
	s_cbranch_execz .LBB0_679
; %bb.672:                              ;   in Loop: Header=BB0_282 Depth=3
	v_cmp_ne_u32_e32 vcc, 0, v11
	v_mov_b32_e32 v10, 0
	s_and_saveexec_b64 s[52:53], vcc
	s_cbranch_execz .LBB0_678
; %bb.673:                              ;   in Loop: Header=BB0_282 Depth=3
	v_bfe_u32 v10, v11, 23, 8
	v_sub_u32_e32 v12, 0x71, v10
	v_cmp_gt_u32_e32 vcc, s67, v10
	v_cndmask_b32_e32 v12, 0, v12, vcc
	v_cmp_eq_u32_e32 vcc, 0, v10
	v_or_b32_e32 v13, 0x800000, v54
	v_cndmask_b32_e32 v12, v12, v49, vcc
	v_add_u32_e32 v11, 0xffffff81, v10
	v_cndmask_b32_e32 v54, v13, v54, vcc
	v_add_u32_e32 v10, 21, v12
	v_cndmask_b32_e32 v14, v11, v48, vcc
	v_lshlrev_b64 v[10:11], v10, -1
	v_add_u32_e32 v13, 20, v12
	v_lshrrev_b64 v[38:39], v12, v[54:55]
	v_not_b32_e32 v11, v11
	v_not_b32_e32 v10, v10
	v_lshlrev_b64 v[36:37], v13, 1
	v_lshrrev_b32_e32 v13, 23, v38
	v_and_b32_e32 v11, 0, v11
	v_and_b32_e32 v10, v54, v10
	v_add3_u32 v27, v12, v14, v13
	v_bfe_u32 v12, v38, 21, 1
	v_add_u32_e32 v12, -1, v12
	v_cmp_eq_u64_e32 vcc, v[10:11], v[36:37]
	v_cndmask_b32_e32 v10, 0, v12, vcc
	v_add_u32_e32 v10, v10, v38
	v_and_b32_e32 v10, 0x1fffff, v10
	v_add_co_u32_e32 v10, vcc, v10, v38
	v_add_u32_e32 v22, 14, v27
	v_addc_co_u32_e32 v11, vcc, 0, v39, vcc
	v_cmp_ne_u32_e32 vcc, 0, v22
                                        ; implicit-def: $vgpr18
	s_and_saveexec_b64 s[18:19], vcc
	s_xor_b64 s[18:19], exec, s[18:19]
; %bb.674:                              ;   in Loop: Header=BB0_282 Depth=3
	v_add_u32_e32 v12, 15, v27
	v_cmp_lt_u64_e32 vcc, s[42:43], v[10:11]
	v_cndmask_b32_e32 v18, v22, v12, vcc
	v_cndmask_b32_e64 v12, 0, 1, vcc
	v_lshrrev_b64 v[10:11], v12, v[10:11]
; %bb.675:                              ;   in Loop: Header=BB0_282 Depth=3
	s_andn2_saveexec_b64 s[18:19], s[18:19]
; %bb.676:                              ;   in Loop: Header=BB0_282 Depth=3
	v_bfe_u32 v18, v10, 23, 1
; %bb.677:                              ;   in Loop: Header=BB0_282 Depth=3
	s_or_b64 exec, exec, s[18:19]
	v_lshrrev_b64 v[10:11], 21, v[10:11]
	v_cmp_gt_i32_e32 vcc, 32, v18
	v_cndmask_b32_e32 v11, 0, v11, vcc
	v_cndmask_b32_e32 v10, 3, v10, vcc
	v_cmp_eq_u64_e64 s[18:19], 0, v[10:11]
	v_min_i32_e32 v11, 31, v18
	v_lshlrev_b32_e32 v11, 2, v11
	v_cmp_eq_u32_e32 vcc, 0, v18
	v_and_b32_e32 v11, 0xfc, v11
	v_and_or_b32 v10, v10, 3, v11
	s_and_b64 s[18:19], vcc, s[18:19]
	v_cndmask_b32_e64 v10, v10, 0, s[18:19]
	v_or_b32_e32 v10, v10, v2
.LBB0_678:                              ;   in Loop: Header=BB0_282 Depth=3
	s_or_b64 exec, exec, s[52:53]
.LBB0_679:                              ;   in Loop: Header=BB0_282 Depth=3
	s_or_b64 exec, exec, s[50:51]
                                        ; implicit-def: $vgpr11
.LBB0_680:                              ;   in Loop: Header=BB0_282 Depth=3
	s_andn2_saveexec_b64 s[18:19], s[48:49]
	s_cbranch_execz .LBB0_281
; %bb.681:                              ;   in Loop: Header=BB0_282 Depth=3
	v_or_b32_sdwa v2, v11, s68 dst_sel:DWORD dst_unused:UNUSED_PAD src0_sel:BYTE_3 src1_sel:DWORD
	v_cmp_eq_u64_e32 vcc, 0, v[54:55]
	v_cndmask_b32_e32 v10, v2, v10, vcc
	s_branch .LBB0_281
.LBB0_682:                              ;   in Loop: Header=BB0_238 Depth=2
	s_or_b64 exec, exec, s[46:47]
	v_accvgpr_read_b32 v51, a11
	v_accvgpr_read_b32 v44, a48
	;; [unrolled: 1-line block ×4, first 2 shown]
	s_or_b64 exec, exec, s[44:45]
	s_and_saveexec_b64 s[18:19], s[10:11]
	s_cbranch_execz .LBB0_242
.LBB0_683:                              ;   in Loop: Header=BB0_238 Depth=2
	s_and_saveexec_b64 vcc, s[28:29]
	s_xor_b64 s[44:45], exec, vcc
	s_cbranch_execz .LBB0_698
; %bb.684:                              ;   in Loop: Header=BB0_238 Depth=2
	s_and_saveexec_b64 s[46:47], s[12:13]
	s_cbranch_execz .LBB0_697
; %bb.685:                              ;   in Loop: Header=BB0_238 Depth=2
	s_mov_b64 s[50:51], exec
	v_mbcnt_lo_u32_b32 v1, s50, 0
	v_mbcnt_hi_u32_b32 v1, s51, v1
	v_cmp_eq_u32_e32 vcc, 0, v1
	s_waitcnt vmcnt(0) lgkmcnt(0)
	buffer_wbinvl1_vol
	s_and_saveexec_b64 s[48:49], vcc
	s_cbranch_execz .LBB0_687
; %bb.686:                              ;   in Loop: Header=BB0_238 Depth=2
	s_bcnt1_i32_b64 vcc_lo, s[50:51]
	v_mov_b32_e32 v54, vcc_lo
	ds_add_u64 v0, v[54:55]
	s_trap 2
.LBB0_687:                              ;   in Loop: Header=BB0_238 Depth=2
	s_or_b64 exec, exec, s[48:49]
	s_trap 2
	ds_read_b64 v[2:3], v0
	v_accvgpr_read_b32 v4, a36
	v_add_co_u32_e32 v42, vcc, v42, v4
	v_accvgpr_read_b32 v1, a47
	v_addc_co_u32_e32 v43, vcc, v43, v1, vcc
	s_waitcnt lgkmcnt(0)
	v_cmp_lt_u64_e32 vcc, v[2:3], v[42:43]
	s_and_saveexec_b64 s[48:49], vcc
	s_cbranch_execz .LBB0_696
; %bb.688:                              ;   in Loop: Header=BB0_238 Depth=2
	s_mov_b32 s77, 0
	s_mov_b64 s[50:51], 0
                                        ; implicit-def: $sgpr52_sgpr53
                                        ; implicit-def: $sgpr54_sgpr55
	s_branch .LBB0_690
.LBB0_689:                              ;   in Loop: Header=BB0_690 Depth=3
	s_or_b64 exec, exec, s[58:59]
	s_and_b64 vcc, exec, vcc
	s_or_b64 s[50:51], vcc, s[50:51]
	s_andn2_b64 vcc, s[52:53], exec
	s_and_b64 s[52:53], s[54:55], exec
	s_or_b64 s[52:53], vcc, s[52:53]
	s_andn2_b64 exec, exec, s[50:51]
	s_cbranch_execz .LBB0_694
.LBB0_690:                              ;   Parent Loop BB0_29 Depth=1
                                        ;     Parent Loop BB0_238 Depth=2
                                        ; =>    This Inner Loop Header: Depth=3
	s_add_i32 s77, s77, 1
	s_cmpk_lg_i32 s77, 0x2710
	s_cselect_b64 s[56:57], -1, 0
	s_and_b64 vcc, exec, s[56:57]
                                        ; implicit-def: $sgpr58_sgpr59
	s_cbranch_vccnz .LBB0_692
; %bb.691:                              ;   in Loop: Header=BB0_690 Depth=3
	s_trap 2
	ds_read_b64 v[2:3], v0
	s_andn2_b64 s[56:57], s[56:57], exec
	s_mov_b32 s77, 0
	s_mov_b64 s[58:59], -1
	s_waitcnt lgkmcnt(0)
	flat_load_dword v1, v[2:3] glc
	s_waitcnt vmcnt(0) lgkmcnt(0)
	buffer_invl2
	buffer_wbinvl1_vol
	v_cmp_eq_u32_e32 vcc, 0, v1
	s_and_b64 vcc, vcc, exec
	s_or_b64 s[56:57], s[56:57], vcc
.LBB0_692:                              ;   in Loop: Header=BB0_690 Depth=3
	s_andn2_b64 s[54:55], s[54:55], exec
	s_and_b64 s[58:59], s[58:59], exec
	s_mov_b64 vcc, -1
	s_or_b64 s[54:55], s[54:55], s[58:59]
	s_and_saveexec_b64 s[58:59], s[56:57]
	s_cbranch_execz .LBB0_689
; %bb.693:                              ;   in Loop: Header=BB0_690 Depth=3
	s_sleep 1
	s_trap 2
	ds_read_b64 v[2:3], v0
	s_andn2_b64 s[54:55], s[54:55], exec
	s_waitcnt lgkmcnt(0)
	v_cmp_ge_u64_e32 vcc, v[2:3], v[42:43]
	s_orn2_b64 vcc, vcc, exec
	s_branch .LBB0_689
.LBB0_694:                              ;   in Loop: Header=BB0_238 Depth=2
	s_or_b64 exec, exec, s[50:51]
	s_and_saveexec_b64 vcc, s[52:53]
	s_xor_b64 vcc, exec, vcc
	s_cbranch_execz .LBB0_696
; %bb.695:                              ;   in Loop: Header=BB0_238 Depth=2
	v_mov_b32_e32 v1, 1
	ds_write_b32 v0, v1
	s_trap 2
.LBB0_696:                              ;   in Loop: Header=BB0_238 Depth=2
	s_or_b64 exec, exec, s[48:49]
	;;#ASMSTART
	s_wakeup
	;;#ASMEND
.LBB0_697:                              ;   in Loop: Header=BB0_238 Depth=2
	s_or_b64 exec, exec, s[46:47]
.LBB0_698:                              ;   in Loop: Header=BB0_238 Depth=2
	s_andn2_saveexec_b64 vcc, s[44:45]
	s_cbranch_execz .LBB0_700
; %bb.699:                              ;   in Loop: Header=BB0_238 Depth=2
	s_waitcnt vmcnt(0) lgkmcnt(0)
	buffer_wbinvl1_vol
	s_barrier
.LBB0_700:                              ;   in Loop: Header=BB0_238 Depth=2
	s_or_b64 exec, exec, vcc
	s_or_b64 exec, exec, s[18:19]
	s_and_saveexec_b64 s[18:19], s[14:15]
	s_cbranch_execnz .LBB0_243
	s_branch .LBB0_244
.LBB0_701:                              ;   in Loop: Header=BB0_29 Depth=1
	v_accvgpr_write_b32 a52, v1
	v_accvgpr_write_b32 a51, v2
	v_pk_mov_b32 v[16:17], v[28:29], v[28:29] op_sel:[0,1]
	s_branch .LBB0_703
.LBB0_702:                              ;   in Loop: Header=BB0_29 Depth=1
	v_accvgpr_read_b32 v8, a30
	v_pk_mov_b32 v[16:17], v[28:29], v[28:29] op_sel:[0,1]
	v_accvgpr_read_b32 v9, a31
.LBB0_703:                              ;   in Loop: Header=BB0_29 Depth=1
	v_accvgpr_read_b32 v4, a51
	v_accvgpr_read_b32 v5, a52
; %bb.704:                              ;   in Loop: Header=BB0_29 Depth=1
	s_and_saveexec_b64 s[18:19], s[16:17]
	s_cbranch_execz .LBB0_1126
; %bb.705:                              ;   in Loop: Header=BB0_29 Depth=1
	v_accvgpr_read_b32 v0, a6
	v_accvgpr_read_b32 v1, a7
	flat_load_dword v10, v[0:1]
	s_waitcnt vmcnt(0) lgkmcnt(0)
	v_accvgpr_read_b32 v2, a12
	v_accvgpr_read_b32 v3, a13
	v_add_co_u32_e32 v2, vcc, v2, v4
	v_addc_co_u32_e32 v3, vcc, v3, v5, vcc
	v_accvgpr_read_b32 v0, a40
	v_add_co_u32_e32 v0, vcc, v0, v4
	v_and_b32_e32 v4, 7, v34
	v_accvgpr_read_b32 v1, a41
	v_mul_lo_u32 v4, v4, s60
	v_addc_co_u32_e32 v1, vcc, v1, v5, vcc
	v_ashrrev_i32_e32 v5, 31, v4
	v_lshlrev_b64 v[4:5], 4, v[4:5]
	v_accvgpr_read_b32 v12, a18
	v_accvgpr_read_b32 v13, a19
	v_add_co_u32_e32 v9, vcc, v12, v4
	v_addc_co_u32_e32 v44, vcc, v13, v5, vcc
	v_accvgpr_read_b32 v5, a32
	v_accvgpr_read_b32 v11, a3
	v_add_u32_e32 v8, 1, v34
	s_mov_b64 s[44:45], 0
	v_accvgpr_read_b32 v26, a2
	v_ashrrev_i32_e32 v4, 31, v10
	v_mul_lo_u32 v5, v5, v10
	v_mad_u64_u32 v[2:3], s[16:17], v11, v10, v[2:3]
	v_mul_lo_u32 v4, v11, v4
	v_add3_u32 v3, v5, v3, v4
	v_accvgpr_read_b32 v4, a38
	v_add_co_u32_e32 v18, vcc, v2, v4
	v_accvgpr_read_b32 v5, a33
	v_addc_co_u32_e32 v19, vcc, v3, v5, vcc
	s_branch .LBB0_707
.LBB0_706:                              ;   in Loop: Header=BB0_707 Depth=2
	v_add_co_u32_e32 v18, vcc, v18, v56
	v_addc_co_u32_e32 v19, vcc, v19, v57, vcc
	v_add_co_u32_e32 v0, vcc, v0, v56
	v_addc_co_u32_e32 v1, vcc, v1, v57, vcc
	v_sub_u32_e32 v46, v46, v56
	v_cmp_gt_i32_e32 vcc, 1, v46
	s_or_b64 s[44:45], vcc, s[44:45]
	v_add_u32_e32 v26, v26, v20
	s_andn2_b64 exec, exec, s[44:45]
	s_cbranch_execz .LBB0_1125
.LBB0_707:                              ;   Parent Loop BB0_29 Depth=1
                                        ; =>  This Loop Header: Depth=2
                                        ;       Child Loop BB0_715 Depth 3
	v_and_b32_e32 v2, -4, v18
	v_mov_b32_e32 v3, v19
	global_load_dword v28, v[2:3], off glc slc
	v_min_u32_e32 v4, 8, v46
	v_and_b32_e32 v5, 3, v18
	v_add_co_u32_e32 v4, vcc, v5, v4
	v_addc_co_u32_e64 v5, s[16:17], 0, 0, vcc
	v_mov_b32_e32 v21, 0
	v_cmp_lt_u64_e32 vcc, 4, v[4:5]
	v_mov_b32_e32 v22, 0
	s_and_saveexec_b64 s[16:17], vcc
	s_cbranch_execz .LBB0_709
; %bb.708:                              ;   in Loop: Header=BB0_707 Depth=2
	global_load_dword v22, v[2:3], off offset:4 glc slc
.LBB0_709:                              ;   in Loop: Header=BB0_707 Depth=2
	s_or_b64 exec, exec, s[16:17]
	v_cmp_lt_u64_e32 vcc, 8, v[4:5]
	s_and_saveexec_b64 s[16:17], vcc
	s_cbranch_execz .LBB0_711
; %bb.710:                              ;   in Loop: Header=BB0_707 Depth=2
	global_load_dword v21, v[2:3], off offset:8 glc slc
.LBB0_711:                              ;   in Loop: Header=BB0_707 Depth=2
	s_or_b64 exec, exec, s[16:17]
	v_ashrrev_i32_e32 v27, 31, v26
	v_lshlrev_b64 v[2:3], 4, v[26:27]
	v_add_co_u32_e32 v10, vcc, v9, v2
	v_addc_co_u32_e32 v11, vcc, v44, v3, vcc
	global_load_dwordx4 v[2:5], v[10:11], off glc slc
	v_cmp_eq_u32_e32 vcc, 0, v30
	s_and_saveexec_b64 s[46:47], vcc
	s_cbranch_execz .LBB0_723
; %bb.712:                              ;   in Loop: Header=BB0_707 Depth=2
	s_waitcnt vmcnt(0)
	v_cmp_ne_u32_e32 vcc, v8, v3
	v_cmp_ne_u32_e64 s[16:17], v8, v5
	s_or_b64 s[16:17], vcc, s[16:17]
	v_mov_b32_e32 v30, 0
	s_and_saveexec_b64 s[48:49], s[16:17]
	s_cbranch_execz .LBB0_722
; %bb.713:                              ;   in Loop: Header=BB0_707 Depth=2
	s_mov_b32 s54, 1
	s_mov_b64 s[50:51], 0
	v_mov_b32_e32 v30, 0
	s_branch .LBB0_715
.LBB0_714:                              ;   in Loop: Header=BB0_715 Depth=3
	s_or_b64 exec, exec, s[52:53]
	s_and_b64 s[16:17], exec, s[16:17]
	s_or_b64 s[50:51], s[16:17], s[50:51]
	s_andn2_b64 exec, exec, s[50:51]
	s_cbranch_execz .LBB0_721
.LBB0_715:                              ;   Parent Loop BB0_29 Depth=1
                                        ;     Parent Loop BB0_707 Depth=2
                                        ; =>    This Inner Loop Header: Depth=3
	global_load_dwordx4 v[2:5], v[10:11], off glc slc
	s_add_i32 s54, s54, 1
	s_cmpk_lg_i32 s54, 0x2710
	s_cbranch_scc1 .LBB0_719
; %bb.716:                              ;   in Loop: Header=BB0_715 Depth=3
	s_trap 2
	ds_read_b64 v[32:33], v0
	s_waitcnt vmcnt(0) lgkmcnt(0)
	flat_load_dword v23, v[32:33] glc
	s_waitcnt vmcnt(0) lgkmcnt(0)
	buffer_invl2
	buffer_wbinvl1_vol
	v_cmp_ne_u32_e32 vcc, 0, v23
	s_and_saveexec_b64 s[16:17], vcc
	s_cbranch_execz .LBB0_718
; %bb.717:                              ;   in Loop: Header=BB0_715 Depth=3
	v_mov_b32_e32 v30, 1
	ds_write_b32 v0, v23
	s_trap 2
.LBB0_718:                              ;   in Loop: Header=BB0_715 Depth=3
	s_or_b64 exec, exec, s[16:17]
	s_mov_b32 s54, 0
	v_mov_b32_e32 v23, v30
	v_cmp_eq_u32_e32 vcc, 0, v23
	s_mov_b64 s[16:17], -1
	s_and_saveexec_b64 s[52:53], vcc
	s_cbranch_execz .LBB0_714
	s_branch .LBB0_720
.LBB0_719:                              ;   in Loop: Header=BB0_715 Depth=3
	v_mov_b32_e32 v23, 0
	v_cmp_eq_u32_e32 vcc, 0, v23
	s_mov_b64 s[16:17], -1
	s_and_saveexec_b64 s[52:53], vcc
	s_cbranch_execz .LBB0_714
.LBB0_720:                              ;   in Loop: Header=BB0_715 Depth=3
	s_waitcnt vmcnt(0)
	v_cmp_eq_u32_e32 vcc, v8, v3
	v_cmp_eq_u32_e64 s[16:17], v8, v5
	s_and_b64 s[16:17], vcc, s[16:17]
	s_orn2_b64 s[16:17], s[16:17], exec
	s_branch .LBB0_714
.LBB0_721:                              ;   in Loop: Header=BB0_707 Depth=2
	s_or_b64 exec, exec, s[50:51]
.LBB0_722:                              ;   in Loop: Header=BB0_707 Depth=2
	s_or_b64 exec, exec, s[48:49]
.LBB0_723:                              ;   in Loop: Header=BB0_707 Depth=2
	s_or_b64 exec, exec, s[46:47]
	v_lshlrev_b32_e32 v23, 3, v18
	s_waitcnt vmcnt(0)
	v_alignbit_b32 v54, v22, v28, v23
	v_cmp_ne_u16_sdwa vcc, v54, v55 src0_sel:BYTE_0 src1_sel:DWORD
	v_mov_b32_e32 v10, 0
	s_and_saveexec_b64 s[16:17], vcc
	s_cbranch_execz .LBB0_731
; %bb.724:                              ;   in Loop: Header=BB0_707 Depth=2
	v_cmp_ne_u16_sdwa vcc, sext(v54), s63 src0_sel:BYTE_0 src1_sel:DWORD
	v_bfrev_b32_e32 v10, 1
	s_and_saveexec_b64 s[46:47], vcc
	s_cbranch_execz .LBB0_730
; %bb.725:                              ;   in Loop: Header=BB0_707 Depth=2
	v_and_b32_e32 v10, 0x7c, v54
	v_and_b32_e32 v11, 3, v54
	v_cmp_ne_u32_e32 vcc, s64, v10
                                        ; implicit-def: $vgpr10
	s_and_saveexec_b64 s[48:49], vcc
	s_xor_b64 s[48:49], exec, s[48:49]
	s_cbranch_execz .LBB0_727
; %bb.726:                              ;   in Loop: Header=BB0_707 Depth=2
	v_ffbh_u32_e32 v27, v11
	v_bfe_u32 v10, v54, 2, 5
	v_min_u32_e32 v27, 32, v27
	v_subrev_u32_e32 v28, 29, v27
	v_sub_u32_e32 v27, 30, v27
	v_cmp_eq_u32_e32 vcc, 0, v10
	v_lshlrev_b64 v[28:29], v28, v[54:55]
	v_cndmask_b32_e32 v10, v10, v27, vcc
	v_and_b32_e32 v28, 3, v28
	v_lshlrev_b32_e32 v27, 24, v54
	v_lshl_add_u32 v10, v10, 23, v7
	v_cndmask_b32_e32 v11, v11, v28, vcc
	v_and_or_b32 v10, v27, s65, v10
	v_lshl_or_b32 v10, v11, 21, v10
                                        ; implicit-def: $vgpr11
.LBB0_727:                              ;   in Loop: Header=BB0_707 Depth=2
	s_andn2_saveexec_b64 s[48:49], s[48:49]
; %bb.728:                              ;   in Loop: Header=BB0_707 Depth=2
	v_cmp_gt_i16_sdwa vcc, sext(v54), v47 src0_sel:BYTE_0 src1_sel:DWORD
	v_cndmask_b32_e32 v10, v24, v25, vcc
	v_cmp_eq_u32_e32 vcc, 0, v11
	v_cndmask_b32_e32 v10, v6, v10, vcc
; %bb.729:                              ;   in Loop: Header=BB0_707 Depth=2
	s_or_b64 exec, exec, s[48:49]
.LBB0_730:                              ;   in Loop: Header=BB0_707 Depth=2
	s_or_b64 exec, exec, s[46:47]
.LBB0_731:                              ;   in Loop: Header=BB0_707 Depth=2
	s_or_b64 exec, exec, s[16:17]
	v_mul_f32_e32 v11, v62, v10
	v_and_b32_sdwa v27, v11, s66 dst_sel:DWORD dst_unused:UNUSED_PAD src0_sel:BYTE_3 src1_sel:DWORD
	v_and_b32_e32 v32, 0x7f800000, v11
	v_mov_b32_e32 v33, v55
	v_and_b32_e32 v28, 0x7fffff, v11
	v_mov_b32_e32 v29, v55
	v_or_b32_e32 v10, 0x7b, v27
	v_cmp_ne_u64_e32 vcc, s[38:39], v[32:33]
	s_and_saveexec_b64 s[16:17], vcc
	s_xor_b64 s[46:47], exec, s[16:17]
	s_cbranch_execz .LBB0_741
; %bb.732:                              ;   in Loop: Header=BB0_707 Depth=2
	v_and_b32_e32 v32, 0x7fffffff, v11
	v_mov_b32_e32 v33, v55
	v_cmp_gt_u64_e32 vcc, s[40:41], v[32:33]
	s_and_saveexec_b64 s[48:49], vcc
	s_cbranch_execz .LBB0_740
; %bb.733:                              ;   in Loop: Header=BB0_707 Depth=2
	v_cmp_ne_u32_e32 vcc, 0, v11
	v_mov_b32_e32 v10, 0
	s_and_saveexec_b64 s[50:51], vcc
	s_cbranch_execz .LBB0_739
; %bb.734:                              ;   in Loop: Header=BB0_707 Depth=2
	v_bfe_u32 v10, v11, 23, 8
	v_sub_u32_e32 v31, 0x71, v10
	v_cmp_gt_u32_e32 vcc, s67, v10
	v_cndmask_b32_e32 v31, 0, v31, vcc
	v_cmp_eq_u32_e32 vcc, 0, v10
	v_cndmask_b32_e32 v31, v31, v49, vcc
	v_add_u32_e32 v11, 0xffffff81, v10
	v_or_b32_e32 v32, 0x800000, v28
	v_add_u32_e32 v10, 21, v31
	v_cndmask_b32_e32 v38, v11, v48, vcc
	v_cndmask_b32_e32 v28, v32, v28, vcc
	v_lshlrev_b64 v[10:11], v10, -1
	v_not_b32_e32 v10, v10
	v_lshrrev_b64 v[36:37], v31, v[28:29]
	v_not_b32_e32 v11, v11
	v_and_b32_e32 v10, v28, v10
	v_add_u32_e32 v32, 20, v31
	v_lshrrev_b32_e32 v28, 23, v36
	v_and_b32_e32 v11, 0, v11
	v_lshlrev_b64 v[32:33], v32, 1
	v_add3_u32 v31, v31, v38, v28
	v_bfe_u32 v28, v36, 21, 1
	v_add_u32_e32 v28, -1, v28
	v_cmp_eq_u64_e32 vcc, v[10:11], v[32:33]
	v_cndmask_b32_e32 v10, 0, v28, vcc
	v_add_u32_e32 v10, v10, v36
	v_and_b32_e32 v10, 0x1fffff, v10
	v_add_co_u32_e32 v10, vcc, v10, v36
	v_add_u32_e32 v29, 14, v31
	v_addc_co_u32_e32 v11, vcc, 0, v37, vcc
	v_cmp_ne_u32_e32 vcc, 0, v29
                                        ; implicit-def: $vgpr28
	s_and_saveexec_b64 s[16:17], vcc
	s_xor_b64 s[16:17], exec, s[16:17]
; %bb.735:                              ;   in Loop: Header=BB0_707 Depth=2
	v_add_u32_e32 v28, 15, v31
	v_cmp_lt_u64_e32 vcc, s[42:43], v[10:11]
	v_cndmask_b32_e32 v28, v29, v28, vcc
	v_cndmask_b32_e64 v29, 0, 1, vcc
	v_lshrrev_b64 v[10:11], v29, v[10:11]
; %bb.736:                              ;   in Loop: Header=BB0_707 Depth=2
	s_andn2_saveexec_b64 s[16:17], s[16:17]
; %bb.737:                              ;   in Loop: Header=BB0_707 Depth=2
	v_bfe_u32 v28, v10, 23, 1
; %bb.738:                              ;   in Loop: Header=BB0_707 Depth=2
	s_or_b64 exec, exec, s[16:17]
	v_lshrrev_b64 v[10:11], 21, v[10:11]
	v_cmp_gt_i32_e32 vcc, 32, v28
	v_cndmask_b32_e32 v11, 0, v11, vcc
	v_cndmask_b32_e32 v10, 3, v10, vcc
	v_cmp_eq_u64_e64 s[16:17], 0, v[10:11]
	v_min_i32_e32 v11, 31, v28
	v_cmp_eq_u32_e32 vcc, 0, v28
	v_lshlrev_b32_e32 v11, 2, v11
	v_and_or_b32 v10, v10, 3, v11
	s_and_b64 s[16:17], vcc, s[16:17]
	v_cndmask_b32_e64 v10, v10, 0, s[16:17]
	v_or_b32_e32 v10, v10, v27
.LBB0_739:                              ;   in Loop: Header=BB0_707 Depth=2
	s_or_b64 exec, exec, s[50:51]
.LBB0_740:                              ;   in Loop: Header=BB0_707 Depth=2
	s_or_b64 exec, exec, s[48:49]
                                        ; implicit-def: $vgpr11
                                        ; implicit-def: $vgpr28_vgpr29
.LBB0_741:                              ;   in Loop: Header=BB0_707 Depth=2
	s_andn2_saveexec_b64 s[16:17], s[46:47]
; %bb.742:                              ;   in Loop: Header=BB0_707 Depth=2
	v_or_b32_sdwa v11, v11, s68 dst_sel:DWORD dst_unused:UNUSED_PAD src0_sel:BYTE_3 src1_sel:DWORD
	v_cmp_eq_u64_e32 vcc, 0, v[28:29]
	v_cndmask_b32_e32 v10, v11, v10, vcc
; %bb.743:                              ;   in Loop: Header=BB0_707 Depth=2
	s_or_b64 exec, exec, s[16:17]
	v_lshrrev_b16_e32 v28, 8, v54
	v_cmp_ne_u16_e32 vcc, 0, v28
	v_mov_b32_e32 v11, 0
	s_and_saveexec_b64 s[16:17], vcc
	s_cbranch_execz .LBB0_751
; %bb.744:                              ;   in Loop: Header=BB0_707 Depth=2
	v_cmp_ne_u16_e32 vcc, s66, v28
	v_bfrev_b32_e32 v11, 1
	s_and_saveexec_b64 s[46:47], vcc
	s_cbranch_execz .LBB0_750
; %bb.745:                              ;   in Loop: Header=BB0_707 Depth=2
	v_and_b32_e32 v11, 0x7c, v28
	v_and_b32_e32 v27, 3, v28
	v_cmp_ne_u32_e32 vcc, s64, v11
                                        ; implicit-def: $vgpr11
	s_and_saveexec_b64 s[48:49], vcc
	s_xor_b64 s[48:49], exec, s[48:49]
	s_cbranch_execz .LBB0_747
; %bb.746:                              ;   in Loop: Header=BB0_707 Depth=2
	v_ffbh_u32_e32 v31, v27
	v_min_u32_e32 v31, 32, v31
	v_mov_b32_e32 v29, v55
	v_subrev_u32_e32 v32, 29, v31
	v_bfe_u32 v11, v28, 2, 5
	v_lshlrev_b64 v[28:29], v32, v[28:29]
	v_sub_u32_e32 v29, 30, v31
	v_cmp_eq_u32_e32 vcc, 0, v11
	v_and_b32_e32 v28, 3, v28
	v_cndmask_b32_e32 v11, v11, v29, vcc
	v_cndmask_b32_e32 v27, v27, v28, vcc
	v_lshlrev_b32_e32 v28, 16, v54
	v_lshl_add_u32 v11, v11, 23, v7
	v_and_or_b32 v11, v28, s65, v11
	v_lshl_or_b32 v11, v27, 21, v11
                                        ; implicit-def: $vgpr27
.LBB0_747:                              ;   in Loop: Header=BB0_707 Depth=2
	s_andn2_saveexec_b64 s[48:49], s[48:49]
; %bb.748:                              ;   in Loop: Header=BB0_707 Depth=2
	v_cmp_lt_i16_e32 vcc, -1, v54
	v_cndmask_b32_e32 v11, v24, v25, vcc
	v_cmp_eq_u32_e32 vcc, 0, v27
	v_cndmask_b32_e32 v11, v6, v11, vcc
; %bb.749:                              ;   in Loop: Header=BB0_707 Depth=2
	s_or_b64 exec, exec, s[48:49]
.LBB0_750:                              ;   in Loop: Header=BB0_707 Depth=2
	s_or_b64 exec, exec, s[46:47]
.LBB0_751:                              ;   in Loop: Header=BB0_707 Depth=2
	s_or_b64 exec, exec, s[16:17]
	v_mul_f32_e32 v31, v62, v11
	v_and_b32_sdwa v27, v31, s66 dst_sel:DWORD dst_unused:UNUSED_PAD src0_sel:BYTE_3 src1_sel:DWORD
	v_and_b32_e32 v32, 0x7f800000, v31
	v_mov_b32_e32 v33, v55
	v_and_b32_e32 v28, 0x7fffff, v31
	v_mov_b32_e32 v29, v55
	v_or_b32_e32 v11, 0x7b, v27
	v_cmp_ne_u64_e32 vcc, s[38:39], v[32:33]
	s_and_saveexec_b64 s[16:17], vcc
	s_xor_b64 s[46:47], exec, s[16:17]
	s_cbranch_execz .LBB0_761
; %bb.752:                              ;   in Loop: Header=BB0_707 Depth=2
	v_and_b32_e32 v32, 0x7fffffff, v31
	v_mov_b32_e32 v33, v55
	v_cmp_gt_u64_e32 vcc, s[40:41], v[32:33]
	s_and_saveexec_b64 s[48:49], vcc
	s_cbranch_execz .LBB0_760
; %bb.753:                              ;   in Loop: Header=BB0_707 Depth=2
	v_cmp_ne_u32_e32 vcc, 0, v31
	v_mov_b32_e32 v11, 0
	s_and_saveexec_b64 s[50:51], vcc
	s_cbranch_execz .LBB0_759
; %bb.754:                              ;   in Loop: Header=BB0_707 Depth=2
	v_bfe_u32 v11, v31, 23, 8
	v_sub_u32_e32 v32, 0x71, v11
	v_cmp_gt_u32_e32 vcc, s67, v11
	v_add_u32_e32 v31, 0xffffff81, v11
	v_cndmask_b32_e32 v32, 0, v32, vcc
	v_cmp_eq_u32_e32 vcc, 0, v11
	v_cndmask_b32_e32 v11, v31, v48, vcc
	v_cndmask_b32_e32 v31, v32, v49, vcc
	v_or_b32_e32 v33, 0x800000, v28
	v_add_u32_e32 v32, 21, v31
	v_cndmask_b32_e32 v28, v33, v28, vcc
	v_lshlrev_b64 v[32:33], v32, -1
	v_not_b32_e32 v32, v32
	v_and_b32_e32 v36, v28, v32
	v_add_u32_e32 v32, 20, v31
	v_lshrrev_b64 v[28:29], v31, v[28:29]
	v_not_b32_e32 v33, v33
	v_lshlrev_b64 v[40:41], v32, 1
	v_lshrrev_b32_e32 v32, 23, v28
	v_and_b32_e32 v37, 0, v33
	v_add3_u32 v32, v31, v11, v32
	v_bfe_u32 v11, v28, 21, 1
	v_add_u32_e32 v11, -1, v11
	v_cmp_eq_u64_e32 vcc, v[36:37], v[40:41]
	v_cndmask_b32_e32 v11, 0, v11, vcc
	v_add_u32_e32 v11, v11, v28
	v_and_b32_e32 v11, 0x1fffff, v11
	v_add_co_u32_e32 v28, vcc, v11, v28
	v_add_u32_e32 v31, 14, v32
	v_addc_co_u32_e32 v29, vcc, 0, v29, vcc
	v_cmp_ne_u32_e32 vcc, 0, v31
                                        ; implicit-def: $vgpr11
	s_and_saveexec_b64 s[16:17], vcc
	s_xor_b64 s[16:17], exec, s[16:17]
; %bb.755:                              ;   in Loop: Header=BB0_707 Depth=2
	v_add_u32_e32 v11, 15, v32
	v_cmp_lt_u64_e32 vcc, s[42:43], v[28:29]
	v_cndmask_b32_e32 v11, v31, v11, vcc
	v_cndmask_b32_e64 v31, 0, 1, vcc
	v_lshrrev_b64 v[28:29], v31, v[28:29]
; %bb.756:                              ;   in Loop: Header=BB0_707 Depth=2
	s_andn2_saveexec_b64 s[16:17], s[16:17]
; %bb.757:                              ;   in Loop: Header=BB0_707 Depth=2
	v_bfe_u32 v11, v28, 23, 1
; %bb.758:                              ;   in Loop: Header=BB0_707 Depth=2
	s_or_b64 exec, exec, s[16:17]
	v_lshrrev_b64 v[28:29], 21, v[28:29]
	v_cmp_gt_i32_e32 vcc, 32, v11
	v_cndmask_b32_e32 v29, 0, v29, vcc
	v_cndmask_b32_e32 v28, 3, v28, vcc
	v_cmp_eq_u32_e32 vcc, 0, v11
	v_min_i32_e32 v11, 31, v11
	v_cmp_eq_u64_e64 s[16:17], 0, v[28:29]
	v_lshlrev_b32_e32 v11, 2, v11
	v_and_or_b32 v11, v28, 3, v11
	s_and_b64 s[16:17], vcc, s[16:17]
	v_cndmask_b32_e64 v11, v11, 0, s[16:17]
	v_or_b32_e32 v11, v11, v27
.LBB0_759:                              ;   in Loop: Header=BB0_707 Depth=2
	s_or_b64 exec, exec, s[50:51]
.LBB0_760:                              ;   in Loop: Header=BB0_707 Depth=2
	s_or_b64 exec, exec, s[48:49]
                                        ; implicit-def: $vgpr31
                                        ; implicit-def: $vgpr28_vgpr29
.LBB0_761:                              ;   in Loop: Header=BB0_707 Depth=2
	s_andn2_saveexec_b64 s[16:17], s[46:47]
; %bb.762:                              ;   in Loop: Header=BB0_707 Depth=2
	v_or_b32_sdwa v27, v31, s68 dst_sel:DWORD dst_unused:UNUSED_PAD src0_sel:BYTE_3 src1_sel:DWORD
	v_cmp_eq_u64_e32 vcc, 0, v[28:29]
	v_cndmask_b32_e32 v11, v27, v11, vcc
; %bb.763:                              ;   in Loop: Header=BB0_707 Depth=2
	s_or_b64 exec, exec, s[16:17]
	v_and_b32_sdwa v29, v54, s62 dst_sel:DWORD dst_unused:UNUSED_PAD src0_sel:WORD_1 src1_sel:DWORD
	v_lshrrev_b32_e32 v28, 16, v54
	v_cmp_ne_u16_e32 vcc, 0, v29
	v_mov_b32_e32 v27, 0
	s_and_saveexec_b64 s[16:17], vcc
	s_cbranch_execz .LBB0_771
; %bb.764:                              ;   in Loop: Header=BB0_707 Depth=2
	v_cmp_ne_u16_e32 vcc, s66, v29
	v_bfrev_b32_e32 v27, 1
	s_and_saveexec_b64 s[46:47], vcc
	s_cbranch_execz .LBB0_770
; %bb.765:                              ;   in Loop: Header=BB0_707 Depth=2
	v_and_b32_e32 v27, 0x7c0000, v54
	v_bfe_u32 v29, v54, 16, 2
	v_cmp_ne_u32_e32 vcc, s69, v27
                                        ; implicit-def: $vgpr27
	s_and_saveexec_b64 s[48:49], vcc
	s_xor_b64 s[48:49], exec, s[48:49]
	s_cbranch_execz .LBB0_767
; %bb.766:                              ;   in Loop: Header=BB0_707 Depth=2
	v_ffbh_u32_e32 v31, v29
	v_min_u32_e32 v31, 32, v31
	v_lshrrev_b32_e32 v28, 16, v54
	v_bfe_u32 v27, v54, 18, 5
	v_subrev_u32_e32 v32, 29, v31
	v_lshlrev_b64 v[32:33], v32, v[28:29]
	v_sub_u32_e32 v28, 30, v31
	v_cmp_eq_u32_e32 vcc, 0, v27
	v_and_b32_e32 v31, 3, v32
	v_cndmask_b32_e32 v27, v27, v28, vcc
	v_cndmask_b32_e32 v28, v29, v31, vcc
	v_lshlrev_b32_e32 v29, 8, v54
	v_lshl_add_u32 v27, v27, 23, v7
	v_and_or_b32 v27, v29, s65, v27
	v_lshl_or_b32 v27, v28, 21, v27
                                        ; implicit-def: $vgpr29
                                        ; implicit-def: $vgpr28
.LBB0_767:                              ;   in Loop: Header=BB0_707 Depth=2
	s_andn2_saveexec_b64 s[48:49], s[48:49]
; %bb.768:                              ;   in Loop: Header=BB0_707 Depth=2
	v_cmp_gt_i16_sdwa vcc, sext(v28), v47 src0_sel:BYTE_0 src1_sel:DWORD
	v_cndmask_b32_e32 v27, v24, v25, vcc
	v_cmp_eq_u32_e32 vcc, 0, v29
	v_cndmask_b32_e32 v27, v6, v27, vcc
; %bb.769:                              ;   in Loop: Header=BB0_707 Depth=2
	s_or_b64 exec, exec, s[48:49]
.LBB0_770:                              ;   in Loop: Header=BB0_707 Depth=2
	s_or_b64 exec, exec, s[46:47]
.LBB0_771:                              ;   in Loop: Header=BB0_707 Depth=2
	s_or_b64 exec, exec, s[16:17]
	v_mul_f32_e32 v29, v62, v27
	v_and_b32_sdwa v27, v29, s66 dst_sel:DWORD dst_unused:UNUSED_PAD src0_sel:BYTE_3 src1_sel:DWORD
	v_and_b32_e32 v32, 0x7f800000, v29
	v_mov_b32_e32 v33, v55
	v_and_b32_e32 v40, 0x7fffff, v29
	v_mov_b32_e32 v41, v55
	v_or_b32_e32 v28, 0x7b, v27
	v_cmp_ne_u64_e32 vcc, s[38:39], v[32:33]
	s_and_saveexec_b64 s[16:17], vcc
	s_xor_b64 s[46:47], exec, s[16:17]
	s_cbranch_execz .LBB0_781
; %bb.772:                              ;   in Loop: Header=BB0_707 Depth=2
	v_and_b32_e32 v32, 0x7fffffff, v29
	v_mov_b32_e32 v33, v55
	v_cmp_gt_u64_e32 vcc, s[40:41], v[32:33]
	s_and_saveexec_b64 s[48:49], vcc
	s_cbranch_execz .LBB0_780
; %bb.773:                              ;   in Loop: Header=BB0_707 Depth=2
	v_cmp_ne_u32_e32 vcc, 0, v29
	v_mov_b32_e32 v28, 0
	s_and_saveexec_b64 s[50:51], vcc
	s_cbranch_execz .LBB0_779
; %bb.774:                              ;   in Loop: Header=BB0_707 Depth=2
	v_bfe_u32 v28, v29, 23, 8
	v_sub_u32_e32 v31, 0x71, v28
	v_cmp_gt_u32_e32 vcc, s67, v28
	v_cndmask_b32_e32 v31, 0, v31, vcc
	v_cmp_eq_u32_e32 vcc, 0, v28
	v_cndmask_b32_e32 v31, v31, v49, vcc
	v_add_u32_e32 v29, 0xffffff81, v28
	v_add_u32_e32 v28, 21, v31
	v_or_b32_e32 v32, 0x800000, v40
	v_cndmask_b32_e32 v33, v29, v48, vcc
	v_lshlrev_b64 v[28:29], v28, -1
	v_cndmask_b32_e32 v40, v32, v40, vcc
	v_not_b32_e32 v28, v28
	v_and_b32_e32 v28, v40, v28
	v_add_u32_e32 v32, 20, v31
	v_lshrrev_b64 v[40:41], v31, v[40:41]
	v_not_b32_e32 v29, v29
	v_lshlrev_b64 v[36:37], v32, 1
	v_lshrrev_b32_e32 v32, 23, v40
	v_and_b32_e32 v29, 0, v29
	v_add3_u32 v33, v31, v33, v32
	v_bfe_u32 v31, v40, 21, 1
	v_add_u32_e32 v31, -1, v31
	v_cmp_eq_u64_e32 vcc, v[28:29], v[36:37]
	v_cndmask_b32_e32 v28, 0, v31, vcc
	v_add_u32_e32 v28, v28, v40
	v_and_b32_e32 v28, 0x1fffff, v28
	v_add_co_u32_e32 v28, vcc, v28, v40
	v_add_u32_e32 v32, 14, v33
	v_addc_co_u32_e32 v29, vcc, 0, v41, vcc
	v_cmp_ne_u32_e32 vcc, 0, v32
                                        ; implicit-def: $vgpr31
	s_and_saveexec_b64 s[16:17], vcc
	s_xor_b64 s[16:17], exec, s[16:17]
; %bb.775:                              ;   in Loop: Header=BB0_707 Depth=2
	v_add_u32_e32 v31, 15, v33
	v_cmp_lt_u64_e32 vcc, s[42:43], v[28:29]
	v_cndmask_b32_e32 v31, v32, v31, vcc
	v_cndmask_b32_e64 v32, 0, 1, vcc
	v_lshrrev_b64 v[28:29], v32, v[28:29]
; %bb.776:                              ;   in Loop: Header=BB0_707 Depth=2
	s_andn2_saveexec_b64 s[16:17], s[16:17]
; %bb.777:                              ;   in Loop: Header=BB0_707 Depth=2
	v_bfe_u32 v31, v28, 23, 1
; %bb.778:                              ;   in Loop: Header=BB0_707 Depth=2
	s_or_b64 exec, exec, s[16:17]
	v_lshrrev_b64 v[28:29], 21, v[28:29]
	v_cmp_gt_i32_e32 vcc, 32, v31
	v_cndmask_b32_e32 v29, 0, v29, vcc
	v_cndmask_b32_e32 v28, 3, v28, vcc
	v_cmp_eq_u64_e64 s[16:17], 0, v[28:29]
	v_min_i32_e32 v29, 31, v31
	v_cmp_eq_u32_e32 vcc, 0, v31
	v_lshlrev_b32_e32 v29, 2, v29
	v_and_or_b32 v28, v28, 3, v29
	s_and_b64 s[16:17], vcc, s[16:17]
	v_cndmask_b32_e64 v28, v28, 0, s[16:17]
	v_or_b32_e32 v28, v28, v27
.LBB0_779:                              ;   in Loop: Header=BB0_707 Depth=2
	s_or_b64 exec, exec, s[50:51]
.LBB0_780:                              ;   in Loop: Header=BB0_707 Depth=2
	s_or_b64 exec, exec, s[48:49]
                                        ; implicit-def: $vgpr29
                                        ; implicit-def: $vgpr40_vgpr41
.LBB0_781:                              ;   in Loop: Header=BB0_707 Depth=2
	s_andn2_saveexec_b64 s[16:17], s[46:47]
; %bb.782:                              ;   in Loop: Header=BB0_707 Depth=2
	v_or_b32_sdwa v27, v29, s68 dst_sel:DWORD dst_unused:UNUSED_PAD src0_sel:BYTE_3 src1_sel:DWORD
	v_cmp_eq_u64_e32 vcc, 0, v[40:41]
	v_cndmask_b32_e32 v28, v27, v28, vcc
; %bb.783:                              ;   in Loop: Header=BB0_707 Depth=2
	s_or_b64 exec, exec, s[16:17]
	v_cmp_lt_u32_e32 vcc, s37, v54
	v_mov_b32_e32 v27, 0
	s_and_saveexec_b64 s[16:17], vcc
	s_cbranch_execz .LBB0_791
; %bb.784:                              ;   in Loop: Header=BB0_707 Depth=2
	v_lshrrev_b32_e32 v40, 24, v54
	v_cmp_ne_u32_e32 vcc, s66, v40
	v_bfrev_b32_e32 v27, 1
	s_and_saveexec_b64 s[46:47], vcc
	s_cbranch_execz .LBB0_790
; %bb.785:                              ;   in Loop: Header=BB0_707 Depth=2
	v_and_b32_e32 v27, 0x7c000000, v54
	v_bfe_u32 v29, v54, 24, 2
	v_cmp_ne_u32_e32 vcc, s70, v27
                                        ; implicit-def: $vgpr27
	s_and_saveexec_b64 s[48:49], vcc
	s_xor_b64 s[48:49], exec, s[48:49]
	s_cbranch_execz .LBB0_787
; %bb.786:                              ;   in Loop: Header=BB0_707 Depth=2
	v_ffbh_u32_e32 v31, v29
	v_bfe_u32 v27, v54, 26, 5
	v_min_u32_e32 v31, 32, v31
	v_subrev_u32_e32 v32, 29, v31
	v_sub_u32_e32 v31, 30, v31
	v_cmp_eq_u32_e32 vcc, 0, v27
	v_lshlrev_b64 v[32:33], v32, v[40:41]
	v_cndmask_b32_e32 v27, v27, v31, vcc
	v_and_b32_e32 v32, 3, v32
	v_lshl_add_u32 v27, v27, 23, v7
	v_cndmask_b32_e32 v29, v29, v32, vcc
	v_and_or_b32 v27, v54, s65, v27
	v_lshl_or_b32 v27, v29, 21, v27
                                        ; implicit-def: $vgpr29
.LBB0_787:                              ;   in Loop: Header=BB0_707 Depth=2
	s_andn2_saveexec_b64 s[48:49], s[48:49]
; %bb.788:                              ;   in Loop: Header=BB0_707 Depth=2
	v_cmp_lt_i32_e32 vcc, -1, v54
	v_cndmask_b32_e32 v27, v24, v25, vcc
	v_cmp_eq_u32_e32 vcc, 0, v29
	v_cndmask_b32_e32 v27, v6, v27, vcc
; %bb.789:                              ;   in Loop: Header=BB0_707 Depth=2
	s_or_b64 exec, exec, s[48:49]
.LBB0_790:                              ;   in Loop: Header=BB0_707 Depth=2
	s_or_b64 exec, exec, s[46:47]
.LBB0_791:                              ;   in Loop: Header=BB0_707 Depth=2
	s_or_b64 exec, exec, s[16:17]
	v_mul_f32_e32 v29, v62, v27
	v_and_b32_sdwa v27, v29, s66 dst_sel:DWORD dst_unused:UNUSED_PAD src0_sel:BYTE_3 src1_sel:DWORD
	v_and_b32_e32 v32, 0x7f800000, v29
	v_mov_b32_e32 v33, v55
	v_and_b32_e32 v54, 0x7fffff, v29
	v_or_b32_e32 v31, 0x7b, v27
	v_cmp_ne_u64_e32 vcc, s[38:39], v[32:33]
	s_and_saveexec_b64 s[16:17], vcc
	s_xor_b64 s[46:47], exec, s[16:17]
	s_cbranch_execz .LBB0_801
; %bb.792:                              ;   in Loop: Header=BB0_707 Depth=2
	v_and_b32_e32 v32, 0x7fffffff, v29
	v_mov_b32_e32 v33, v55
	v_cmp_gt_u64_e32 vcc, s[40:41], v[32:33]
	s_and_saveexec_b64 s[48:49], vcc
	s_cbranch_execz .LBB0_800
; %bb.793:                              ;   in Loop: Header=BB0_707 Depth=2
	v_cmp_ne_u32_e32 vcc, 0, v29
	v_mov_b32_e32 v31, 0
	s_and_saveexec_b64 s[50:51], vcc
	s_cbranch_execz .LBB0_799
; %bb.794:                              ;   in Loop: Header=BB0_707 Depth=2
	v_bfe_u32 v29, v29, 23, 8
	v_sub_u32_e32 v32, 0x71, v29
	v_cmp_gt_u32_e32 vcc, s67, v29
	v_add_u32_e32 v31, 0xffffff81, v29
	v_cndmask_b32_e32 v32, 0, v32, vcc
	v_cmp_eq_u32_e32 vcc, 0, v29
	v_cndmask_b32_e32 v29, v31, v48, vcc
	v_cndmask_b32_e32 v31, v32, v49, vcc
	v_or_b32_e32 v33, 0x800000, v54
	v_add_u32_e32 v32, 21, v31
	v_cndmask_b32_e32 v54, v33, v54, vcc
	v_lshlrev_b64 v[32:33], v32, -1
	v_not_b32_e32 v32, v32
	v_and_b32_e32 v36, v54, v32
	v_add_u32_e32 v32, 20, v31
	v_lshrrev_b64 v[60:61], v31, v[54:55]
	v_not_b32_e32 v33, v33
	v_lshlrev_b64 v[40:41], v32, 1
	v_lshrrev_b32_e32 v32, 23, v60
	v_and_b32_e32 v37, 0, v33
	v_add3_u32 v32, v31, v29, v32
	v_bfe_u32 v29, v60, 21, 1
	v_add_u32_e32 v29, -1, v29
	v_cmp_eq_u64_e32 vcc, v[36:37], v[40:41]
	v_cndmask_b32_e32 v29, 0, v29, vcc
	v_add_u32_e32 v29, v29, v60
	v_and_b32_e32 v29, 0x1fffff, v29
	v_add_co_u32_e32 v40, vcc, v29, v60
	v_add_u32_e32 v31, 14, v32
	v_addc_co_u32_e32 v41, vcc, 0, v61, vcc
	v_cmp_ne_u32_e32 vcc, 0, v31
                                        ; implicit-def: $vgpr29
	s_and_saveexec_b64 s[16:17], vcc
	s_xor_b64 s[16:17], exec, s[16:17]
; %bb.795:                              ;   in Loop: Header=BB0_707 Depth=2
	v_add_u32_e32 v29, 15, v32
	v_cmp_lt_u64_e32 vcc, s[42:43], v[40:41]
	v_cndmask_b32_e32 v29, v31, v29, vcc
	v_cndmask_b32_e64 v31, 0, 1, vcc
	v_lshrrev_b64 v[40:41], v31, v[40:41]
; %bb.796:                              ;   in Loop: Header=BB0_707 Depth=2
	s_andn2_saveexec_b64 s[16:17], s[16:17]
; %bb.797:                              ;   in Loop: Header=BB0_707 Depth=2
	v_bfe_u32 v29, v40, 23, 1
; %bb.798:                              ;   in Loop: Header=BB0_707 Depth=2
	s_or_b64 exec, exec, s[16:17]
	v_lshrrev_b64 v[32:33], 21, v[40:41]
	v_cmp_gt_i32_e32 vcc, 32, v29
	v_cndmask_b32_e32 v33, 0, v33, vcc
	v_cndmask_b32_e32 v32, 3, v32, vcc
	v_cmp_eq_u32_e32 vcc, 0, v29
	v_min_i32_e32 v29, 31, v29
	v_cmp_eq_u64_e64 s[16:17], 0, v[32:33]
	v_lshlrev_b32_e32 v29, 2, v29
	v_and_or_b32 v29, v32, 3, v29
	s_and_b64 s[16:17], vcc, s[16:17]
	v_cndmask_b32_e64 v29, v29, 0, s[16:17]
	v_or_b32_e32 v31, v29, v27
.LBB0_799:                              ;   in Loop: Header=BB0_707 Depth=2
	s_or_b64 exec, exec, s[50:51]
.LBB0_800:                              ;   in Loop: Header=BB0_707 Depth=2
	s_or_b64 exec, exec, s[48:49]
                                        ; implicit-def: $vgpr29
.LBB0_801:                              ;   in Loop: Header=BB0_707 Depth=2
	s_andn2_saveexec_b64 s[16:17], s[46:47]
; %bb.802:                              ;   in Loop: Header=BB0_707 Depth=2
	v_or_b32_sdwa v27, v29, s68 dst_sel:DWORD dst_unused:UNUSED_PAD src0_sel:BYTE_3 src1_sel:DWORD
	v_cmp_eq_u64_e32 vcc, 0, v[54:55]
	v_cndmask_b32_e32 v31, v27, v31, vcc
; %bb.803:                              ;   in Loop: Header=BB0_707 Depth=2
	s_or_b64 exec, exec, s[16:17]
	v_alignbit_b32 v54, v21, v22, v23
	v_cmp_ne_u16_sdwa vcc, v54, v55 src0_sel:BYTE_0 src1_sel:DWORD
	v_mov_b32_e32 v21, 0
	s_and_saveexec_b64 s[16:17], vcc
	s_cbranch_execz .LBB0_811
; %bb.804:                              ;   in Loop: Header=BB0_707 Depth=2
	v_cmp_ne_u16_sdwa vcc, sext(v54), s63 src0_sel:BYTE_0 src1_sel:DWORD
	v_bfrev_b32_e32 v21, 1
	s_and_saveexec_b64 s[46:47], vcc
	s_cbranch_execz .LBB0_810
; %bb.805:                              ;   in Loop: Header=BB0_707 Depth=2
	v_and_b32_e32 v21, 0x7c, v54
	v_and_b32_e32 v22, 3, v54
	v_cmp_ne_u32_e32 vcc, s64, v21
                                        ; implicit-def: $vgpr21
	s_and_saveexec_b64 s[48:49], vcc
	s_xor_b64 s[48:49], exec, s[48:49]
	s_cbranch_execz .LBB0_807
; %bb.806:                              ;   in Loop: Header=BB0_707 Depth=2
	v_ffbh_u32_e32 v23, v22
	v_bfe_u32 v21, v54, 2, 5
	v_min_u32_e32 v23, 32, v23
	v_subrev_u32_e32 v27, 29, v23
	v_sub_u32_e32 v23, 30, v23
	v_cmp_eq_u32_e32 vcc, 0, v21
	v_lshlrev_b64 v[32:33], v27, v[54:55]
	v_cndmask_b32_e32 v21, v21, v23, vcc
	v_and_b32_e32 v27, 3, v32
	v_lshlrev_b32_e32 v23, 24, v54
	v_lshl_add_u32 v21, v21, 23, v7
	v_cndmask_b32_e32 v22, v22, v27, vcc
	v_and_or_b32 v21, v23, s65, v21
	v_lshl_or_b32 v21, v22, 21, v21
                                        ; implicit-def: $vgpr22
.LBB0_807:                              ;   in Loop: Header=BB0_707 Depth=2
	s_andn2_saveexec_b64 s[48:49], s[48:49]
; %bb.808:                              ;   in Loop: Header=BB0_707 Depth=2
	v_cmp_gt_i16_sdwa vcc, sext(v54), v47 src0_sel:BYTE_0 src1_sel:DWORD
	v_cndmask_b32_e32 v21, v24, v25, vcc
	v_cmp_eq_u32_e32 vcc, 0, v22
	v_cndmask_b32_e32 v21, v6, v21, vcc
; %bb.809:                              ;   in Loop: Header=BB0_707 Depth=2
	s_or_b64 exec, exec, s[48:49]
.LBB0_810:                              ;   in Loop: Header=BB0_707 Depth=2
	s_or_b64 exec, exec, s[46:47]
.LBB0_811:                              ;   in Loop: Header=BB0_707 Depth=2
	s_or_b64 exec, exec, s[16:17]
	v_mul_f32_e32 v22, v62, v21
	v_and_b32_sdwa v21, v22, s66 dst_sel:DWORD dst_unused:UNUSED_PAD src0_sel:BYTE_3 src1_sel:DWORD
	v_and_b32_e32 v32, 0x7f800000, v22
	v_mov_b32_e32 v33, v55
	v_and_b32_e32 v40, 0x7fffff, v22
	v_mov_b32_e32 v41, v55
	v_or_b32_e32 v29, 0x7b, v21
	v_cmp_ne_u64_e32 vcc, s[38:39], v[32:33]
	s_and_saveexec_b64 s[16:17], vcc
	s_xor_b64 s[46:47], exec, s[16:17]
	s_cbranch_execz .LBB0_821
; %bb.812:                              ;   in Loop: Header=BB0_707 Depth=2
	v_and_b32_e32 v32, 0x7fffffff, v22
	v_mov_b32_e32 v33, v55
	v_cmp_gt_u64_e32 vcc, s[40:41], v[32:33]
	s_and_saveexec_b64 s[48:49], vcc
	s_cbranch_execz .LBB0_820
; %bb.813:                              ;   in Loop: Header=BB0_707 Depth=2
	v_cmp_ne_u32_e32 vcc, 0, v22
	v_mov_b32_e32 v29, 0
	s_and_saveexec_b64 s[50:51], vcc
	s_cbranch_execz .LBB0_819
; %bb.814:                              ;   in Loop: Header=BB0_707 Depth=2
	v_bfe_u32 v22, v22, 23, 8
	v_sub_u32_e32 v27, 0x71, v22
	v_cmp_gt_u32_e32 vcc, s67, v22
	v_cndmask_b32_e32 v27, 0, v27, vcc
	v_cmp_eq_u32_e32 vcc, 0, v22
	v_cndmask_b32_e32 v27, v27, v49, vcc
	v_add_u32_e32 v23, 0xffffff81, v22
	v_add_u32_e32 v22, 21, v27
	v_or_b32_e32 v29, 0x800000, v40
	v_cndmask_b32_e32 v38, v23, v48, vcc
	v_lshlrev_b64 v[22:23], v22, -1
	v_cndmask_b32_e32 v40, v29, v40, vcc
	v_not_b32_e32 v22, v22
	v_and_b32_e32 v32, v40, v22
	v_add_u32_e32 v22, 20, v27
	v_lshrrev_b64 v[40:41], v27, v[40:41]
	v_not_b32_e32 v23, v23
	v_lshlrev_b64 v[36:37], v22, 1
	v_lshrrev_b32_e32 v22, 23, v40
	v_and_b32_e32 v33, 0, v23
	v_add3_u32 v27, v27, v38, v22
	v_bfe_u32 v22, v40, 21, 1
	v_add_u32_e32 v22, -1, v22
	v_cmp_eq_u64_e32 vcc, v[32:33], v[36:37]
	v_cndmask_b32_e32 v22, 0, v22, vcc
	v_add_u32_e32 v22, v22, v40
	v_and_b32_e32 v22, 0x1fffff, v22
	v_add_co_u32_e32 v40, vcc, v22, v40
	v_add_u32_e32 v23, 14, v27
	v_addc_co_u32_e32 v41, vcc, 0, v41, vcc
	v_cmp_ne_u32_e32 vcc, 0, v23
                                        ; implicit-def: $vgpr22
	s_and_saveexec_b64 s[16:17], vcc
	s_xor_b64 s[16:17], exec, s[16:17]
; %bb.815:                              ;   in Loop: Header=BB0_707 Depth=2
	v_add_u32_e32 v22, 15, v27
	v_cmp_lt_u64_e32 vcc, s[42:43], v[40:41]
	v_cndmask_b32_e32 v22, v23, v22, vcc
	v_cndmask_b32_e64 v23, 0, 1, vcc
	v_lshrrev_b64 v[40:41], v23, v[40:41]
; %bb.816:                              ;   in Loop: Header=BB0_707 Depth=2
	s_andn2_saveexec_b64 s[16:17], s[16:17]
; %bb.817:                              ;   in Loop: Header=BB0_707 Depth=2
	v_bfe_u32 v22, v40, 23, 1
; %bb.818:                              ;   in Loop: Header=BB0_707 Depth=2
	s_or_b64 exec, exec, s[16:17]
	v_lshrrev_b64 v[32:33], 21, v[40:41]
	v_cmp_gt_i32_e32 vcc, 32, v22
	v_cndmask_b32_e32 v33, 0, v33, vcc
	v_cndmask_b32_e32 v32, 3, v32, vcc
	v_cmp_eq_u32_e32 vcc, 0, v22
	v_min_i32_e32 v22, 31, v22
	v_cmp_eq_u64_e64 s[16:17], 0, v[32:33]
	v_lshlrev_b32_e32 v22, 2, v22
	v_and_or_b32 v22, v32, 3, v22
	s_and_b64 s[16:17], vcc, s[16:17]
	v_cndmask_b32_e64 v22, v22, 0, s[16:17]
	v_or_b32_e32 v29, v22, v21
.LBB0_819:                              ;   in Loop: Header=BB0_707 Depth=2
	s_or_b64 exec, exec, s[50:51]
.LBB0_820:                              ;   in Loop: Header=BB0_707 Depth=2
	s_or_b64 exec, exec, s[48:49]
                                        ; implicit-def: $vgpr22
                                        ; implicit-def: $vgpr40_vgpr41
.LBB0_821:                              ;   in Loop: Header=BB0_707 Depth=2
	s_andn2_saveexec_b64 s[16:17], s[46:47]
; %bb.822:                              ;   in Loop: Header=BB0_707 Depth=2
	v_or_b32_sdwa v21, v22, s68 dst_sel:DWORD dst_unused:UNUSED_PAD src0_sel:BYTE_3 src1_sel:DWORD
	v_cmp_eq_u64_e32 vcc, 0, v[40:41]
	v_cndmask_b32_e32 v29, v21, v29, vcc
; %bb.823:                              ;   in Loop: Header=BB0_707 Depth=2
	s_or_b64 exec, exec, s[16:17]
	v_lshrrev_b16_e32 v40, 8, v54
	v_cmp_ne_u16_e32 vcc, 0, v40
	v_mov_b32_e32 v21, 0
	s_and_saveexec_b64 s[16:17], vcc
	s_cbranch_execz .LBB0_831
; %bb.824:                              ;   in Loop: Header=BB0_707 Depth=2
	v_cmp_ne_u16_e32 vcc, s66, v40
	v_bfrev_b32_e32 v21, 1
	s_and_saveexec_b64 s[46:47], vcc
	s_cbranch_execz .LBB0_830
; %bb.825:                              ;   in Loop: Header=BB0_707 Depth=2
	v_and_b32_e32 v21, 0x7c, v40
	v_and_b32_e32 v22, 3, v40
	v_cmp_ne_u32_e32 vcc, s64, v21
                                        ; implicit-def: $vgpr21
	s_and_saveexec_b64 s[48:49], vcc
	s_xor_b64 s[48:49], exec, s[48:49]
	s_cbranch_execz .LBB0_827
; %bb.826:                              ;   in Loop: Header=BB0_707 Depth=2
	v_ffbh_u32_e32 v23, v22
	v_bfe_u32 v21, v40, 2, 5
	v_min_u32_e32 v23, 32, v23
	v_mov_b32_e32 v41, v55
	v_subrev_u32_e32 v27, 29, v23
	v_sub_u32_e32 v23, 30, v23
	v_cmp_eq_u32_e32 vcc, 0, v21
	v_lshlrev_b64 v[32:33], v27, v[40:41]
	v_cndmask_b32_e32 v21, v21, v23, vcc
	v_and_b32_e32 v27, 3, v32
	v_lshlrev_b32_e32 v23, 16, v54
	v_lshl_add_u32 v21, v21, 23, v7
	v_cndmask_b32_e32 v22, v22, v27, vcc
	v_and_or_b32 v21, v23, s65, v21
	v_lshl_or_b32 v21, v22, 21, v21
                                        ; implicit-def: $vgpr22
.LBB0_827:                              ;   in Loop: Header=BB0_707 Depth=2
	s_andn2_saveexec_b64 s[48:49], s[48:49]
; %bb.828:                              ;   in Loop: Header=BB0_707 Depth=2
	v_cmp_lt_i16_e32 vcc, -1, v54
	v_cndmask_b32_e32 v21, v24, v25, vcc
	v_cmp_eq_u32_e32 vcc, 0, v22
	v_cndmask_b32_e32 v21, v6, v21, vcc
; %bb.829:                              ;   in Loop: Header=BB0_707 Depth=2
	s_or_b64 exec, exec, s[48:49]
.LBB0_830:                              ;   in Loop: Header=BB0_707 Depth=2
	s_or_b64 exec, exec, s[46:47]
.LBB0_831:                              ;   in Loop: Header=BB0_707 Depth=2
	s_or_b64 exec, exec, s[16:17]
	v_mul_f32_e32 v22, v62, v21
	v_and_b32_sdwa v21, v22, s66 dst_sel:DWORD dst_unused:UNUSED_PAD src0_sel:BYTE_3 src1_sel:DWORD
	v_and_b32_e32 v36, 0x7f800000, v22
	v_mov_b32_e32 v37, v55
	v_and_b32_e32 v40, 0x7fffff, v22
	v_mov_b32_e32 v41, v55
	v_or_b32_e32 v33, 0x7b, v21
	v_cmp_ne_u64_e32 vcc, s[38:39], v[36:37]
	s_and_saveexec_b64 s[16:17], vcc
	s_xor_b64 s[46:47], exec, s[16:17]
	s_cbranch_execz .LBB0_841
; %bb.832:                              ;   in Loop: Header=BB0_707 Depth=2
	v_and_b32_e32 v36, 0x7fffffff, v22
	v_mov_b32_e32 v37, v55
	v_cmp_gt_u64_e32 vcc, s[40:41], v[36:37]
	s_and_saveexec_b64 s[48:49], vcc
	s_cbranch_execz .LBB0_840
; %bb.833:                              ;   in Loop: Header=BB0_707 Depth=2
	v_cmp_ne_u32_e32 vcc, 0, v22
	v_mov_b32_e32 v33, 0
	s_and_saveexec_b64 s[50:51], vcc
	s_cbranch_execz .LBB0_839
; %bb.834:                              ;   in Loop: Header=BB0_707 Depth=2
	v_bfe_u32 v22, v22, 23, 8
	v_sub_u32_e32 v27, 0x71, v22
	v_cmp_gt_u32_e32 vcc, s67, v22
	v_cndmask_b32_e32 v27, 0, v27, vcc
	v_cmp_eq_u32_e32 vcc, 0, v22
	v_cndmask_b32_e32 v27, v27, v49, vcc
	v_add_u32_e32 v23, 0xffffff81, v22
	v_add_u32_e32 v22, 21, v27
	v_or_b32_e32 v32, 0x800000, v40
	v_cndmask_b32_e32 v38, v23, v48, vcc
	v_lshlrev_b64 v[22:23], v22, -1
	v_cndmask_b32_e32 v40, v32, v40, vcc
	v_not_b32_e32 v22, v22
	v_and_b32_e32 v32, v40, v22
	v_add_u32_e32 v22, 20, v27
	v_lshrrev_b64 v[40:41], v27, v[40:41]
	v_not_b32_e32 v23, v23
	v_lshlrev_b64 v[36:37], v22, 1
	v_lshrrev_b32_e32 v22, 23, v40
	v_and_b32_e32 v33, 0, v23
	v_add3_u32 v27, v27, v38, v22
	v_bfe_u32 v22, v40, 21, 1
	v_add_u32_e32 v22, -1, v22
	v_cmp_eq_u64_e32 vcc, v[32:33], v[36:37]
	v_cndmask_b32_e32 v22, 0, v22, vcc
	v_add_u32_e32 v22, v22, v40
	v_and_b32_e32 v22, 0x1fffff, v22
	v_add_co_u32_e32 v40, vcc, v22, v40
	v_add_u32_e32 v23, 14, v27
	v_addc_co_u32_e32 v41, vcc, 0, v41, vcc
	v_cmp_ne_u32_e32 vcc, 0, v23
                                        ; implicit-def: $vgpr22
	s_and_saveexec_b64 s[16:17], vcc
	s_xor_b64 s[16:17], exec, s[16:17]
; %bb.835:                              ;   in Loop: Header=BB0_707 Depth=2
	v_add_u32_e32 v22, 15, v27
	v_cmp_lt_u64_e32 vcc, s[42:43], v[40:41]
	v_cndmask_b32_e32 v22, v23, v22, vcc
	v_cndmask_b32_e64 v23, 0, 1, vcc
	v_lshrrev_b64 v[40:41], v23, v[40:41]
; %bb.836:                              ;   in Loop: Header=BB0_707 Depth=2
	s_andn2_saveexec_b64 s[16:17], s[16:17]
; %bb.837:                              ;   in Loop: Header=BB0_707 Depth=2
	v_bfe_u32 v22, v40, 23, 1
; %bb.838:                              ;   in Loop: Header=BB0_707 Depth=2
	s_or_b64 exec, exec, s[16:17]
	v_lshrrev_b64 v[32:33], 21, v[40:41]
	v_cmp_gt_i32_e32 vcc, 32, v22
	v_cndmask_b32_e32 v33, 0, v33, vcc
	v_cndmask_b32_e32 v32, 3, v32, vcc
	v_cmp_eq_u32_e32 vcc, 0, v22
	v_min_i32_e32 v22, 31, v22
	v_cmp_eq_u64_e64 s[16:17], 0, v[32:33]
	v_lshlrev_b32_e32 v22, 2, v22
	v_and_or_b32 v22, v32, 3, v22
	s_and_b64 s[16:17], vcc, s[16:17]
	v_cndmask_b32_e64 v22, v22, 0, s[16:17]
	v_or_b32_e32 v33, v22, v21
.LBB0_839:                              ;   in Loop: Header=BB0_707 Depth=2
	s_or_b64 exec, exec, s[50:51]
.LBB0_840:                              ;   in Loop: Header=BB0_707 Depth=2
	s_or_b64 exec, exec, s[48:49]
                                        ; implicit-def: $vgpr22
                                        ; implicit-def: $vgpr40_vgpr41
.LBB0_841:                              ;   in Loop: Header=BB0_707 Depth=2
	s_andn2_saveexec_b64 s[16:17], s[46:47]
; %bb.842:                              ;   in Loop: Header=BB0_707 Depth=2
	v_or_b32_sdwa v21, v22, s68 dst_sel:DWORD dst_unused:UNUSED_PAD src0_sel:BYTE_3 src1_sel:DWORD
	v_cmp_eq_u64_e32 vcc, 0, v[40:41]
	v_cndmask_b32_e32 v33, v21, v33, vcc
; %bb.843:                              ;   in Loop: Header=BB0_707 Depth=2
	s_or_b64 exec, exec, s[16:17]
	v_and_b32_sdwa v22, v54, s62 dst_sel:DWORD dst_unused:UNUSED_PAD src0_sel:WORD_1 src1_sel:DWORD
	v_lshrrev_b32_e32 v40, 16, v54
	v_cmp_ne_u16_e32 vcc, 0, v22
	v_mov_b32_e32 v21, 0
	s_and_saveexec_b64 s[16:17], vcc
	s_cbranch_execz .LBB0_851
; %bb.844:                              ;   in Loop: Header=BB0_707 Depth=2
	v_cmp_ne_u16_e32 vcc, s66, v22
	v_bfrev_b32_e32 v21, 1
	s_and_saveexec_b64 s[46:47], vcc
	s_cbranch_execz .LBB0_850
; %bb.845:                              ;   in Loop: Header=BB0_707 Depth=2
	v_and_b32_e32 v21, 0x7c0000, v54
	v_bfe_u32 v22, v54, 16, 2
	v_cmp_ne_u32_e32 vcc, s69, v21
                                        ; implicit-def: $vgpr21
	s_and_saveexec_b64 s[48:49], vcc
	s_xor_b64 s[48:49], exec, s[48:49]
	s_cbranch_execz .LBB0_847
; %bb.846:                              ;   in Loop: Header=BB0_707 Depth=2
	v_ffbh_u32_e32 v23, v22
	v_bfe_u32 v21, v54, 18, 5
	v_min_u32_e32 v23, 32, v23
	v_subrev_u32_e32 v27, 29, v23
	v_sub_u32_e32 v23, 30, v23
	v_cmp_eq_u32_e32 vcc, 0, v21
	v_lshlrev_b64 v[36:37], v27, v[40:41]
	v_cndmask_b32_e32 v21, v21, v23, vcc
	v_and_b32_e32 v27, 3, v36
	v_lshlrev_b32_e32 v23, 8, v54
	v_lshl_add_u32 v21, v21, 23, v7
	v_cndmask_b32_e32 v22, v22, v27, vcc
	v_and_or_b32 v21, v23, s65, v21
	v_lshl_or_b32 v21, v22, 21, v21
                                        ; implicit-def: $vgpr22
                                        ; implicit-def: $vgpr40
.LBB0_847:                              ;   in Loop: Header=BB0_707 Depth=2
	s_andn2_saveexec_b64 s[48:49], s[48:49]
; %bb.848:                              ;   in Loop: Header=BB0_707 Depth=2
	v_cmp_gt_i16_sdwa vcc, sext(v40), v47 src0_sel:BYTE_0 src1_sel:DWORD
	v_cndmask_b32_e32 v21, v24, v25, vcc
	v_cmp_eq_u32_e32 vcc, 0, v22
	v_cndmask_b32_e32 v21, v6, v21, vcc
; %bb.849:                              ;   in Loop: Header=BB0_707 Depth=2
	s_or_b64 exec, exec, s[48:49]
.LBB0_850:                              ;   in Loop: Header=BB0_707 Depth=2
	s_or_b64 exec, exec, s[46:47]
.LBB0_851:                              ;   in Loop: Header=BB0_707 Depth=2
	s_or_b64 exec, exec, s[16:17]
	v_mul_f32_e32 v22, v62, v21
	v_and_b32_sdwa v21, v22, s66 dst_sel:DWORD dst_unused:UNUSED_PAD src0_sel:BYTE_3 src1_sel:DWORD
	v_and_b32_e32 v36, 0x7f800000, v22
	v_mov_b32_e32 v37, v55
	v_and_b32_e32 v40, 0x7fffff, v22
	v_mov_b32_e32 v41, v55
	v_or_b32_e32 v27, 0x7b, v21
	v_cmp_ne_u64_e32 vcc, s[38:39], v[36:37]
	s_and_saveexec_b64 s[16:17], vcc
	s_xor_b64 s[46:47], exec, s[16:17]
	s_cbranch_execz .LBB0_861
; %bb.852:                              ;   in Loop: Header=BB0_707 Depth=2
	v_and_b32_e32 v36, 0x7fffffff, v22
	v_mov_b32_e32 v37, v55
	v_cmp_gt_u64_e32 vcc, s[40:41], v[36:37]
	s_and_saveexec_b64 s[48:49], vcc
	s_cbranch_execz .LBB0_860
; %bb.853:                              ;   in Loop: Header=BB0_707 Depth=2
	v_cmp_ne_u32_e32 vcc, 0, v22
	v_mov_b32_e32 v27, 0
	s_and_saveexec_b64 s[50:51], vcc
	s_cbranch_execz .LBB0_859
; %bb.854:                              ;   in Loop: Header=BB0_707 Depth=2
	v_bfe_u32 v22, v22, 23, 8
	v_sub_u32_e32 v27, 0x71, v22
	v_cmp_gt_u32_e32 vcc, s67, v22
	v_cndmask_b32_e32 v27, 0, v27, vcc
	v_cmp_eq_u32_e32 vcc, 0, v22
	v_cndmask_b32_e32 v27, v27, v49, vcc
	v_add_u32_e32 v23, 0xffffff81, v22
	v_add_u32_e32 v22, 21, v27
	v_or_b32_e32 v32, 0x800000, v40
	v_cndmask_b32_e32 v38, v23, v48, vcc
	v_lshlrev_b64 v[22:23], v22, -1
	v_cndmask_b32_e32 v40, v32, v40, vcc
	v_not_b32_e32 v22, v22
	v_and_b32_e32 v36, v40, v22
	v_add_u32_e32 v22, 20, v27
	v_lshrrev_b64 v[40:41], v27, v[40:41]
	v_not_b32_e32 v23, v23
	v_lshlrev_b64 v[60:61], v22, 1
	v_lshrrev_b32_e32 v22, 23, v40
	v_and_b32_e32 v37, 0, v23
	v_add3_u32 v27, v27, v38, v22
	v_bfe_u32 v22, v40, 21, 1
	v_add_u32_e32 v22, -1, v22
	v_cmp_eq_u64_e32 vcc, v[36:37], v[60:61]
	v_cndmask_b32_e32 v22, 0, v22, vcc
	v_add_u32_e32 v22, v22, v40
	v_and_b32_e32 v22, 0x1fffff, v22
	v_add_co_u32_e32 v40, vcc, v22, v40
	v_add_u32_e32 v23, 14, v27
	v_addc_co_u32_e32 v41, vcc, 0, v41, vcc
	v_cmp_ne_u32_e32 vcc, 0, v23
                                        ; implicit-def: $vgpr22
	s_and_saveexec_b64 s[16:17], vcc
	s_xor_b64 s[16:17], exec, s[16:17]
; %bb.855:                              ;   in Loop: Header=BB0_707 Depth=2
	v_add_u32_e32 v22, 15, v27
	v_cmp_lt_u64_e32 vcc, s[42:43], v[40:41]
	v_cndmask_b32_e32 v22, v23, v22, vcc
	v_cndmask_b32_e64 v23, 0, 1, vcc
	v_lshrrev_b64 v[40:41], v23, v[40:41]
; %bb.856:                              ;   in Loop: Header=BB0_707 Depth=2
	s_andn2_saveexec_b64 s[16:17], s[16:17]
; %bb.857:                              ;   in Loop: Header=BB0_707 Depth=2
	v_bfe_u32 v22, v40, 23, 1
; %bb.858:                              ;   in Loop: Header=BB0_707 Depth=2
	s_or_b64 exec, exec, s[16:17]
	v_lshrrev_b64 v[36:37], 21, v[40:41]
	v_cmp_gt_i32_e32 vcc, 32, v22
	v_cndmask_b32_e32 v37, 0, v37, vcc
	v_cndmask_b32_e32 v36, 3, v36, vcc
	v_cmp_eq_u32_e32 vcc, 0, v22
	v_min_i32_e32 v22, 31, v22
	v_lshlrev_b32_e32 v22, 2, v22
	v_cmp_eq_u64_e64 s[16:17], 0, v[36:37]
	v_and_b32_e32 v22, 0xfc, v22
	v_and_or_b32 v22, v36, 3, v22
	s_and_b64 s[16:17], vcc, s[16:17]
	v_cndmask_b32_e64 v22, v22, 0, s[16:17]
	v_or_b32_e32 v27, v22, v21
.LBB0_859:                              ;   in Loop: Header=BB0_707 Depth=2
	s_or_b64 exec, exec, s[50:51]
.LBB0_860:                              ;   in Loop: Header=BB0_707 Depth=2
	s_or_b64 exec, exec, s[48:49]
                                        ; implicit-def: $vgpr22
                                        ; implicit-def: $vgpr40_vgpr41
.LBB0_861:                              ;   in Loop: Header=BB0_707 Depth=2
	s_andn2_saveexec_b64 s[16:17], s[46:47]
; %bb.862:                              ;   in Loop: Header=BB0_707 Depth=2
	v_or_b32_sdwa v21, v22, s68 dst_sel:DWORD dst_unused:UNUSED_PAD src0_sel:BYTE_3 src1_sel:DWORD
	v_cmp_eq_u64_e32 vcc, 0, v[40:41]
	v_cndmask_b32_e32 v27, v21, v27, vcc
; %bb.863:                              ;   in Loop: Header=BB0_707 Depth=2
	s_or_b64 exec, exec, s[16:17]
	v_cmp_lt_u32_e32 vcc, s37, v54
	v_mov_b32_e32 v21, 0
	s_and_saveexec_b64 s[16:17], vcc
	s_cbranch_execz .LBB0_871
; %bb.864:                              ;   in Loop: Header=BB0_707 Depth=2
	v_lshrrev_b32_e32 v40, 24, v54
	v_cmp_ne_u32_e32 vcc, s66, v40
	v_bfrev_b32_e32 v21, 1
	s_and_saveexec_b64 s[46:47], vcc
	s_cbranch_execz .LBB0_870
; %bb.865:                              ;   in Loop: Header=BB0_707 Depth=2
	v_and_b32_e32 v21, 0x7c000000, v54
	v_bfe_u32 v22, v54, 24, 2
	v_cmp_ne_u32_e32 vcc, s70, v21
                                        ; implicit-def: $vgpr21
	s_and_saveexec_b64 s[48:49], vcc
	s_xor_b64 s[48:49], exec, s[48:49]
	s_cbranch_execz .LBB0_867
; %bb.866:                              ;   in Loop: Header=BB0_707 Depth=2
	v_ffbh_u32_e32 v23, v22
	v_bfe_u32 v21, v54, 26, 5
	v_min_u32_e32 v23, 32, v23
	v_subrev_u32_e32 v32, 29, v23
	v_sub_u32_e32 v23, 30, v23
	v_cmp_eq_u32_e32 vcc, 0, v21
	v_lshlrev_b64 v[36:37], v32, v[40:41]
	v_cndmask_b32_e32 v21, v21, v23, vcc
	v_and_b32_e32 v32, 3, v36
	v_lshl_add_u32 v21, v21, 23, v7
	v_cndmask_b32_e32 v22, v22, v32, vcc
	v_and_or_b32 v21, v54, s65, v21
	v_lshl_or_b32 v21, v22, 21, v21
                                        ; implicit-def: $vgpr22
.LBB0_867:                              ;   in Loop: Header=BB0_707 Depth=2
	s_andn2_saveexec_b64 s[48:49], s[48:49]
; %bb.868:                              ;   in Loop: Header=BB0_707 Depth=2
	v_cmp_lt_i32_e32 vcc, -1, v54
	v_cndmask_b32_e32 v21, v24, v25, vcc
	v_cmp_eq_u32_e32 vcc, 0, v22
	v_cndmask_b32_e32 v21, v6, v21, vcc
; %bb.869:                              ;   in Loop: Header=BB0_707 Depth=2
	s_or_b64 exec, exec, s[48:49]
.LBB0_870:                              ;   in Loop: Header=BB0_707 Depth=2
	s_or_b64 exec, exec, s[46:47]
.LBB0_871:                              ;   in Loop: Header=BB0_707 Depth=2
	s_or_b64 exec, exec, s[16:17]
	v_mul_f32_e32 v22, v62, v21
	v_and_b32_sdwa v21, v22, s66 dst_sel:DWORD dst_unused:UNUSED_PAD src0_sel:BYTE_3 src1_sel:DWORD
	v_and_b32_e32 v36, 0x7f800000, v22
	v_mov_b32_e32 v37, v55
	v_and_b32_e32 v54, 0x7fffff, v22
	v_or_b32_e32 v23, 0x7b, v21
	v_cmp_ne_u64_e32 vcc, s[38:39], v[36:37]
	s_and_saveexec_b64 s[16:17], vcc
	s_xor_b64 s[46:47], exec, s[16:17]
	s_cbranch_execz .LBB0_881
; %bb.872:                              ;   in Loop: Header=BB0_707 Depth=2
	v_and_b32_e32 v36, 0x7fffffff, v22
	v_mov_b32_e32 v37, v55
	v_cmp_gt_u64_e32 vcc, s[40:41], v[36:37]
	s_and_saveexec_b64 s[48:49], vcc
	s_cbranch_execz .LBB0_880
; %bb.873:                              ;   in Loop: Header=BB0_707 Depth=2
	v_cmp_ne_u32_e32 vcc, 0, v22
	v_mov_b32_e32 v23, 0
	s_and_saveexec_b64 s[50:51], vcc
	s_cbranch_execz .LBB0_879
; %bb.874:                              ;   in Loop: Header=BB0_707 Depth=2
	v_bfe_u32 v22, v22, 23, 8
	v_sub_u32_e32 v32, 0x71, v22
	v_cmp_gt_u32_e32 vcc, s67, v22
	v_cndmask_b32_e32 v32, 0, v32, vcc
	v_cmp_eq_u32_e32 vcc, 0, v22
	v_cndmask_b32_e32 v32, v32, v49, vcc
	v_add_u32_e32 v23, 0xffffff81, v22
	v_add_u32_e32 v22, 21, v32
	v_or_b32_e32 v36, 0x800000, v54
	v_cndmask_b32_e32 v38, v23, v48, vcc
	v_lshlrev_b64 v[22:23], v22, -1
	v_cndmask_b32_e32 v54, v36, v54, vcc
	v_not_b32_e32 v22, v22
	v_and_b32_e32 v36, v54, v22
	v_add_u32_e32 v22, 20, v32
	v_lshrrev_b64 v[60:61], v32, v[54:55]
	v_not_b32_e32 v23, v23
	v_lshlrev_b64 v[40:41], v22, 1
	v_lshrrev_b32_e32 v22, 23, v60
	v_and_b32_e32 v37, 0, v23
	v_add3_u32 v32, v32, v38, v22
	v_bfe_u32 v22, v60, 21, 1
	v_add_u32_e32 v22, -1, v22
	v_cmp_eq_u64_e32 vcc, v[36:37], v[40:41]
	v_cndmask_b32_e32 v22, 0, v22, vcc
	v_add_u32_e32 v22, v22, v60
	v_and_b32_e32 v22, 0x1fffff, v22
	v_add_co_u32_e32 v40, vcc, v22, v60
	v_add_u32_e32 v23, 14, v32
	v_addc_co_u32_e32 v41, vcc, 0, v61, vcc
	v_cmp_ne_u32_e32 vcc, 0, v23
                                        ; implicit-def: $vgpr22
	s_and_saveexec_b64 s[16:17], vcc
	s_xor_b64 s[16:17], exec, s[16:17]
; %bb.875:                              ;   in Loop: Header=BB0_707 Depth=2
	v_add_u32_e32 v22, 15, v32
	v_cmp_lt_u64_e32 vcc, s[42:43], v[40:41]
	v_cndmask_b32_e32 v22, v23, v22, vcc
	v_cndmask_b32_e64 v23, 0, 1, vcc
	v_lshrrev_b64 v[40:41], v23, v[40:41]
; %bb.876:                              ;   in Loop: Header=BB0_707 Depth=2
	s_andn2_saveexec_b64 s[16:17], s[16:17]
; %bb.877:                              ;   in Loop: Header=BB0_707 Depth=2
	v_bfe_u32 v22, v40, 23, 1
; %bb.878:                              ;   in Loop: Header=BB0_707 Depth=2
	s_or_b64 exec, exec, s[16:17]
	v_lshrrev_b64 v[36:37], 21, v[40:41]
	v_cmp_gt_i32_e32 vcc, 32, v22
	v_cndmask_b32_e32 v37, 0, v37, vcc
	v_cndmask_b32_e32 v36, 3, v36, vcc
	v_cmp_eq_u32_e32 vcc, 0, v22
	v_min_i32_e32 v22, 31, v22
	v_lshlrev_b32_e32 v22, 2, v22
	v_cmp_eq_u64_e64 s[16:17], 0, v[36:37]
	v_and_b32_e32 v22, 0xfc, v22
	v_and_or_b32 v22, v36, 3, v22
	s_and_b64 s[16:17], vcc, s[16:17]
	v_cndmask_b32_e64 v22, v22, 0, s[16:17]
	v_or_b32_e32 v23, v22, v21
.LBB0_879:                              ;   in Loop: Header=BB0_707 Depth=2
	s_or_b64 exec, exec, s[50:51]
.LBB0_880:                              ;   in Loop: Header=BB0_707 Depth=2
	s_or_b64 exec, exec, s[48:49]
                                        ; implicit-def: $vgpr22
.LBB0_881:                              ;   in Loop: Header=BB0_707 Depth=2
	s_andn2_saveexec_b64 s[16:17], s[46:47]
; %bb.882:                              ;   in Loop: Header=BB0_707 Depth=2
	v_or_b32_sdwa v21, v22, s68 dst_sel:DWORD dst_unused:UNUSED_PAD src0_sel:BYTE_3 src1_sel:DWORD
	v_cmp_eq_u64_e32 vcc, 0, v[54:55]
	v_cndmask_b32_e32 v23, v21, v23, vcc
; %bb.883:                              ;   in Loop: Header=BB0_707 Depth=2
	s_or_b64 exec, exec, s[16:17]
	s_waitcnt vmcnt(0)
	v_cmp_ne_u16_sdwa vcc, v2, v55 src0_sel:BYTE_0 src1_sel:DWORD
	v_mov_b32_e32 v22, 0
	v_mov_b32_e32 v21, 0
	s_and_saveexec_b64 s[16:17], vcc
	s_cbranch_execz .LBB0_891
; %bb.884:                              ;   in Loop: Header=BB0_707 Depth=2
	v_cmp_ne_u16_sdwa vcc, sext(v2), s63 src0_sel:BYTE_0 src1_sel:DWORD
	v_bfrev_b32_e32 v21, 1
	s_and_saveexec_b64 s[46:47], vcc
	s_cbranch_execz .LBB0_890
; %bb.885:                              ;   in Loop: Header=BB0_707 Depth=2
	v_and_b32_e32 v21, 0x7c, v2
	v_and_b32_e32 v32, 3, v2
	v_cmp_ne_u32_e32 vcc, s64, v21
                                        ; implicit-def: $vgpr21
	s_and_saveexec_b64 s[48:49], vcc
	s_xor_b64 s[48:49], exec, s[48:49]
	s_cbranch_execz .LBB0_887
; %bb.886:                              ;   in Loop: Header=BB0_707 Depth=2
	v_ffbh_u32_e32 v36, v32
	v_min_u32_e32 v38, 32, v36
	v_bfe_u32 v21, v2, 2, 5
	v_subrev_u32_e32 v36, 29, v38
	v_lshlrev_b64 v[36:37], v36, v[2:3]
	v_sub_u32_e32 v3, 30, v38
	v_cmp_eq_u32_e32 vcc, 0, v21
	v_and_b32_e32 v36, 3, v36
	v_cndmask_b32_e32 v3, v21, v3, vcc
	v_cndmask_b32_e32 v21, v32, v36, vcc
	v_lshlrev_b32_e32 v32, 24, v2
	v_lshl_add_u32 v3, v3, 23, v7
	v_and_or_b32 v3, v32, s65, v3
	v_lshl_or_b32 v21, v21, 21, v3
                                        ; implicit-def: $vgpr32
.LBB0_887:                              ;   in Loop: Header=BB0_707 Depth=2
	s_andn2_saveexec_b64 s[48:49], s[48:49]
; %bb.888:                              ;   in Loop: Header=BB0_707 Depth=2
	v_cmp_gt_i16_sdwa vcc, sext(v2), v47 src0_sel:BYTE_0 src1_sel:DWORD
	v_cndmask_b32_e32 v3, v24, v25, vcc
	v_cmp_eq_u32_e32 vcc, 0, v32
	v_cndmask_b32_e32 v21, v6, v3, vcc
; %bb.889:                              ;   in Loop: Header=BB0_707 Depth=2
	s_or_b64 exec, exec, s[48:49]
.LBB0_890:                              ;   in Loop: Header=BB0_707 Depth=2
	s_or_b64 exec, exec, s[46:47]
.LBB0_891:                              ;   in Loop: Header=BB0_707 Depth=2
	s_or_b64 exec, exec, s[16:17]
	v_cmp_ne_u16_sdwa vcc, v10, v55 src0_sel:BYTE_0 src1_sel:DWORD
	s_and_saveexec_b64 s[16:17], vcc
	s_cbranch_execz .LBB0_899
; %bb.892:                              ;   in Loop: Header=BB0_707 Depth=2
	v_cmp_ne_u16_sdwa vcc, sext(v10), s63 src0_sel:BYTE_0 src1_sel:DWORD
	v_bfrev_b32_e32 v22, 1
	s_and_saveexec_b64 s[46:47], vcc
	s_cbranch_execz .LBB0_898
; %bb.893:                              ;   in Loop: Header=BB0_707 Depth=2
	v_and_b32_e32 v22, 0x7c, v10
	v_and_b32_e32 v3, 3, v10
	v_cmp_ne_u32_e32 vcc, s64, v22
                                        ; implicit-def: $vgpr22
	s_and_saveexec_b64 s[48:49], vcc
	s_xor_b64 s[48:49], exec, s[48:49]
	s_cbranch_execz .LBB0_895
; %bb.894:                              ;   in Loop: Header=BB0_707 Depth=2
	v_ffbh_u32_e32 v32, v3
	v_bfe_u32 v22, v10, 2, 5
	v_min_u32_e32 v32, 32, v32
	v_subrev_u32_e32 v36, 29, v32
	v_sub_u32_e32 v32, 30, v32
	v_cmp_eq_u32_e32 vcc, 0, v22
	v_lshlrev_b64 v[36:37], v36, v[10:11]
	v_cndmask_b32_e32 v22, v22, v32, vcc
	v_and_b32_e32 v36, 3, v36
	v_lshlrev_b32_e32 v32, 24, v10
	v_lshl_add_u32 v22, v22, 23, v7
	v_cndmask_b32_e32 v3, v3, v36, vcc
	v_and_or_b32 v22, v32, s65, v22
	v_lshl_or_b32 v22, v3, 21, v22
                                        ; implicit-def: $vgpr3
.LBB0_895:                              ;   in Loop: Header=BB0_707 Depth=2
	s_andn2_saveexec_b64 s[48:49], s[48:49]
; %bb.896:                              ;   in Loop: Header=BB0_707 Depth=2
	v_cmp_gt_i16_sdwa vcc, sext(v10), v47 src0_sel:BYTE_0 src1_sel:DWORD
	v_cndmask_b32_e32 v22, v24, v25, vcc
	v_cmp_eq_u32_e32 vcc, 0, v3
	v_cndmask_b32_e32 v22, v6, v22, vcc
; %bb.897:                              ;   in Loop: Header=BB0_707 Depth=2
	s_or_b64 exec, exec, s[48:49]
.LBB0_898:                              ;   in Loop: Header=BB0_707 Depth=2
	s_or_b64 exec, exec, s[46:47]
.LBB0_899:                              ;   in Loop: Header=BB0_707 Depth=2
	s_or_b64 exec, exec, s[16:17]
	v_add_f32_e32 v22, v21, v22
	v_and_b32_sdwa v3, v22, s66 dst_sel:DWORD dst_unused:UNUSED_PAD src0_sel:BYTE_3 src1_sel:DWORD
	v_and_b32_e32 v36, 0x7f800000, v22
	v_mov_b32_e32 v37, v55
	v_and_b32_e32 v54, 0x7fffff, v22
	v_or_b32_e32 v21, 0x7b, v3
	v_cmp_ne_u64_e32 vcc, s[38:39], v[36:37]
	s_and_saveexec_b64 s[16:17], vcc
	s_xor_b64 s[46:47], exec, s[16:17]
	s_cbranch_execz .LBB0_909
; %bb.900:                              ;   in Loop: Header=BB0_707 Depth=2
	v_and_b32_e32 v36, 0x7fffffff, v22
	v_mov_b32_e32 v37, v55
	v_cmp_gt_u64_e32 vcc, s[40:41], v[36:37]
	s_and_saveexec_b64 s[48:49], vcc
	s_cbranch_execz .LBB0_908
; %bb.901:                              ;   in Loop: Header=BB0_707 Depth=2
	v_cmp_ne_u32_e32 vcc, 0, v22
	v_mov_b32_e32 v21, 0
	s_and_saveexec_b64 s[50:51], vcc
	s_cbranch_execz .LBB0_907
; %bb.902:                              ;   in Loop: Header=BB0_707 Depth=2
	v_bfe_u32 v21, v22, 23, 8
	v_sub_u32_e32 v32, 0x71, v21
	v_cmp_gt_u32_e32 vcc, s67, v21
	v_add_u32_e32 v22, 0xffffff81, v21
	v_cndmask_b32_e32 v32, 0, v32, vcc
	v_cmp_eq_u32_e32 vcc, 0, v21
	v_cndmask_b32_e32 v21, v22, v48, vcc
	v_cndmask_b32_e32 v22, v32, v49, vcc
	v_or_b32_e32 v36, 0x800000, v54
	v_add_u32_e32 v32, 21, v22
	v_cndmask_b32_e32 v54, v36, v54, vcc
	v_lshlrev_b64 v[36:37], v32, -1
	v_not_b32_e32 v32, v37
	v_and_b32_e32 v37, 0, v32
	v_add_u32_e32 v32, 20, v22
	v_lshrrev_b64 v[60:61], v22, v[54:55]
	v_not_b32_e32 v36, v36
	v_lshlrev_b64 v[40:41], v32, 1
	v_lshrrev_b32_e32 v32, 23, v60
	v_and_b32_e32 v36, v54, v36
	v_add3_u32 v32, v22, v21, v32
	v_bfe_u32 v21, v60, 21, 1
	v_add_u32_e32 v21, -1, v21
	v_cmp_eq_u64_e32 vcc, v[36:37], v[40:41]
	v_cndmask_b32_e32 v21, 0, v21, vcc
	v_add_u32_e32 v21, v21, v60
	v_and_b32_e32 v21, 0x1fffff, v21
	v_add_co_u32_e32 v40, vcc, v21, v60
	v_add_u32_e32 v22, 14, v32
	v_addc_co_u32_e32 v41, vcc, 0, v61, vcc
	v_cmp_ne_u32_e32 vcc, 0, v22
                                        ; implicit-def: $vgpr21
	s_and_saveexec_b64 s[16:17], vcc
	s_xor_b64 s[16:17], exec, s[16:17]
; %bb.903:                              ;   in Loop: Header=BB0_707 Depth=2
	v_add_u32_e32 v21, 15, v32
	v_cmp_lt_u64_e32 vcc, s[42:43], v[40:41]
	v_cndmask_b32_e32 v21, v22, v21, vcc
	v_cndmask_b32_e64 v22, 0, 1, vcc
	v_lshrrev_b64 v[40:41], v22, v[40:41]
; %bb.904:                              ;   in Loop: Header=BB0_707 Depth=2
	s_andn2_saveexec_b64 s[16:17], s[16:17]
; %bb.905:                              ;   in Loop: Header=BB0_707 Depth=2
	v_bfe_u32 v21, v40, 23, 1
; %bb.906:                              ;   in Loop: Header=BB0_707 Depth=2
	s_or_b64 exec, exec, s[16:17]
	v_lshrrev_b64 v[36:37], 21, v[40:41]
	v_cmp_gt_i32_e32 vcc, 32, v21
	v_cndmask_b32_e32 v37, 0, v37, vcc
	v_cndmask_b32_e32 v36, 3, v36, vcc
	v_cmp_eq_u32_e32 vcc, 0, v21
	v_min_i32_e32 v21, 31, v21
	v_cmp_eq_u64_e64 s[16:17], 0, v[36:37]
	v_lshlrev_b32_e32 v21, 2, v21
	v_and_or_b32 v21, v36, 3, v21
	s_and_b64 s[16:17], vcc, s[16:17]
	v_cndmask_b32_e64 v21, v21, 0, s[16:17]
	v_or_b32_e32 v21, v21, v3
.LBB0_907:                              ;   in Loop: Header=BB0_707 Depth=2
	s_or_b64 exec, exec, s[50:51]
.LBB0_908:                              ;   in Loop: Header=BB0_707 Depth=2
	s_or_b64 exec, exec, s[48:49]
                                        ; implicit-def: $vgpr22
.LBB0_909:                              ;   in Loop: Header=BB0_707 Depth=2
	s_andn2_saveexec_b64 s[16:17], s[46:47]
; %bb.910:                              ;   in Loop: Header=BB0_707 Depth=2
	v_or_b32_sdwa v3, v22, s68 dst_sel:DWORD dst_unused:UNUSED_PAD src0_sel:BYTE_3 src1_sel:DWORD
	v_cmp_eq_u64_e32 vcc, 0, v[54:55]
	v_cndmask_b32_e32 v21, v3, v21, vcc
; %bb.911:                              ;   in Loop: Header=BB0_707 Depth=2
	s_or_b64 exec, exec, s[16:17]
	v_lshrrev_b16_e32 v54, 8, v2
	v_cmp_ne_u16_e32 vcc, 0, v54
	v_mov_b32_e32 v3, 0
	v_mov_b32_e32 v22, 0
	s_and_saveexec_b64 s[16:17], vcc
	s_cbranch_execz .LBB0_919
; %bb.912:                              ;   in Loop: Header=BB0_707 Depth=2
	v_cmp_ne_u16_e32 vcc, s66, v54
	v_bfrev_b32_e32 v22, 1
	s_and_saveexec_b64 s[46:47], vcc
	s_cbranch_execz .LBB0_918
; %bb.913:                              ;   in Loop: Header=BB0_707 Depth=2
	v_and_b32_e32 v22, 0x7c, v54
	v_and_b32_e32 v32, 3, v54
	v_cmp_ne_u32_e32 vcc, s64, v22
                                        ; implicit-def: $vgpr22
	s_and_saveexec_b64 s[48:49], vcc
	s_xor_b64 s[48:49], exec, s[48:49]
	s_cbranch_execz .LBB0_915
; %bb.914:                              ;   in Loop: Header=BB0_707 Depth=2
	v_ffbh_u32_e32 v36, v32
	v_min_u32_e32 v38, 32, v36
	v_subrev_u32_e32 v36, 29, v38
	v_bfe_u32 v22, v54, 2, 5
	v_lshlrev_b64 v[36:37], v36, v[54:55]
	v_sub_u32_e32 v37, 30, v38
	v_cmp_eq_u32_e32 vcc, 0, v22
	v_and_b32_e32 v36, 3, v36
	v_cndmask_b32_e32 v22, v22, v37, vcc
	v_cndmask_b32_e32 v32, v32, v36, vcc
	v_lshlrev_b32_e32 v36, 16, v2
	v_lshl_add_u32 v22, v22, 23, v7
	v_and_or_b32 v22, v36, s65, v22
	v_lshl_or_b32 v22, v32, 21, v22
                                        ; implicit-def: $vgpr32
.LBB0_915:                              ;   in Loop: Header=BB0_707 Depth=2
	s_andn2_saveexec_b64 s[48:49], s[48:49]
; %bb.916:                              ;   in Loop: Header=BB0_707 Depth=2
	v_cmp_lt_i16_e32 vcc, -1, v2
	v_cndmask_b32_e32 v22, v24, v25, vcc
	v_cmp_eq_u32_e32 vcc, 0, v32
	v_cndmask_b32_e32 v22, v6, v22, vcc
; %bb.917:                              ;   in Loop: Header=BB0_707 Depth=2
	s_or_b64 exec, exec, s[48:49]
.LBB0_918:                              ;   in Loop: Header=BB0_707 Depth=2
	s_or_b64 exec, exec, s[46:47]
.LBB0_919:                              ;   in Loop: Header=BB0_707 Depth=2
	s_or_b64 exec, exec, s[16:17]
	v_perm_b32 v10, v11, v10, s72
	v_lshrrev_b16_e32 v54, 8, v10
	v_cmp_ne_u16_e32 vcc, 0, v54
	s_and_saveexec_b64 s[16:17], vcc
	s_cbranch_execz .LBB0_927
; %bb.920:                              ;   in Loop: Header=BB0_707 Depth=2
	v_cmp_ne_u16_e32 vcc, s66, v54
	v_bfrev_b32_e32 v3, 1
	s_and_saveexec_b64 s[46:47], vcc
	s_cbranch_execz .LBB0_926
; %bb.921:                              ;   in Loop: Header=BB0_707 Depth=2
	v_and_b32_e32 v3, 0x7c, v54
	v_and_b32_e32 v11, 3, v54
	v_cmp_ne_u32_e32 vcc, s64, v3
                                        ; implicit-def: $vgpr3
	s_and_saveexec_b64 s[48:49], vcc
	s_xor_b64 s[48:49], exec, s[48:49]
	s_cbranch_execz .LBB0_923
; %bb.922:                              ;   in Loop: Header=BB0_707 Depth=2
	v_ffbh_u32_e32 v32, v11
	v_bfe_u32 v3, v54, 2, 5
	v_min_u32_e32 v32, 32, v32
	v_subrev_u32_e32 v36, 29, v32
	v_sub_u32_e32 v32, 30, v32
	v_cmp_eq_u32_e32 vcc, 0, v3
	v_lshlrev_b64 v[36:37], v36, v[54:55]
	v_cndmask_b32_e32 v3, v3, v32, vcc
	v_and_b32_e32 v36, 3, v36
	v_lshlrev_b32_e32 v10, 16, v10
	v_lshl_add_u32 v3, v3, 23, v7
	v_cndmask_b32_e32 v11, v11, v36, vcc
	v_and_or_b32 v3, v10, s65, v3
	v_lshl_or_b32 v3, v11, 21, v3
                                        ; implicit-def: $vgpr11
                                        ; implicit-def: $vgpr10
.LBB0_923:                              ;   in Loop: Header=BB0_707 Depth=2
	s_andn2_saveexec_b64 s[48:49], s[48:49]
; %bb.924:                              ;   in Loop: Header=BB0_707 Depth=2
	v_cmp_lt_i16_e32 vcc, -1, v10
	v_cndmask_b32_e32 v3, v24, v25, vcc
	v_cmp_eq_u32_e32 vcc, 0, v11
	v_cndmask_b32_e32 v3, v6, v3, vcc
; %bb.925:                              ;   in Loop: Header=BB0_707 Depth=2
	s_or_b64 exec, exec, s[48:49]
.LBB0_926:                              ;   in Loop: Header=BB0_707 Depth=2
	s_or_b64 exec, exec, s[46:47]
.LBB0_927:                              ;   in Loop: Header=BB0_707 Depth=2
	s_or_b64 exec, exec, s[16:17]
	v_add_f32_e32 v10, v22, v3
	v_and_b32_sdwa v3, v10, s66 dst_sel:DWORD dst_unused:UNUSED_PAD src0_sel:BYTE_3 src1_sel:DWORD
	v_and_b32_e32 v36, 0x7f800000, v10
	v_mov_b32_e32 v37, v55
	v_and_b32_e32 v54, 0x7fffff, v10
	v_or_b32_e32 v32, 0x7b, v3
	v_cmp_ne_u64_e32 vcc, s[38:39], v[36:37]
	s_and_saveexec_b64 s[16:17], vcc
	s_xor_b64 s[46:47], exec, s[16:17]
	s_cbranch_execz .LBB0_937
; %bb.928:                              ;   in Loop: Header=BB0_707 Depth=2
	v_and_b32_e32 v36, 0x7fffffff, v10
	v_mov_b32_e32 v37, v55
	v_cmp_gt_u64_e32 vcc, s[40:41], v[36:37]
	s_and_saveexec_b64 s[48:49], vcc
	s_cbranch_execz .LBB0_936
; %bb.929:                              ;   in Loop: Header=BB0_707 Depth=2
	v_cmp_ne_u32_e32 vcc, 0, v10
	v_mov_b32_e32 v32, 0
	s_and_saveexec_b64 s[50:51], vcc
	s_cbranch_execz .LBB0_935
; %bb.930:                              ;   in Loop: Header=BB0_707 Depth=2
	v_bfe_u32 v10, v10, 23, 8
	v_sub_u32_e32 v22, 0x71, v10
	v_cmp_gt_u32_e32 vcc, s67, v10
	v_cndmask_b32_e32 v22, 0, v22, vcc
	v_cmp_eq_u32_e32 vcc, 0, v10
	v_or_b32_e32 v32, 0x800000, v54
	v_cndmask_b32_e32 v22, v22, v49, vcc
	v_add_u32_e32 v11, 0xffffff81, v10
	v_cndmask_b32_e32 v54, v32, v54, vcc
	v_add_u32_e32 v10, 21, v22
	v_cndmask_b32_e32 v36, v11, v48, vcc
	v_lshlrev_b64 v[10:11], v10, -1
	v_add_u32_e32 v32, 20, v22
	v_lshrrev_b64 v[60:61], v22, v[54:55]
	v_not_b32_e32 v11, v11
	v_not_b32_e32 v10, v10
	v_lshlrev_b64 v[40:41], v32, 1
	v_lshrrev_b32_e32 v32, 23, v60
	v_and_b32_e32 v11, 0, v11
	v_and_b32_e32 v10, v54, v10
	v_add3_u32 v36, v22, v36, v32
	v_bfe_u32 v22, v60, 21, 1
	v_add_u32_e32 v22, -1, v22
	v_cmp_eq_u64_e32 vcc, v[10:11], v[40:41]
	v_cndmask_b32_e32 v10, 0, v22, vcc
	v_add_u32_e32 v10, v10, v60
	v_and_b32_e32 v10, 0x1fffff, v10
	v_add_co_u32_e32 v10, vcc, v10, v60
	v_add_u32_e32 v32, 14, v36
	v_addc_co_u32_e32 v11, vcc, 0, v61, vcc
	v_cmp_ne_u32_e32 vcc, 0, v32
                                        ; implicit-def: $vgpr22
	s_and_saveexec_b64 s[16:17], vcc
	s_xor_b64 s[16:17], exec, s[16:17]
; %bb.931:                              ;   in Loop: Header=BB0_707 Depth=2
	v_add_u32_e32 v22, 15, v36
	v_cmp_lt_u64_e32 vcc, s[42:43], v[10:11]
	v_cndmask_b32_e32 v22, v32, v22, vcc
	v_cndmask_b32_e64 v32, 0, 1, vcc
	v_lshrrev_b64 v[10:11], v32, v[10:11]
; %bb.932:                              ;   in Loop: Header=BB0_707 Depth=2
	s_andn2_saveexec_b64 s[16:17], s[16:17]
; %bb.933:                              ;   in Loop: Header=BB0_707 Depth=2
	v_bfe_u32 v22, v10, 23, 1
; %bb.934:                              ;   in Loop: Header=BB0_707 Depth=2
	s_or_b64 exec, exec, s[16:17]
	v_lshrrev_b64 v[10:11], 21, v[10:11]
	v_cmp_gt_i32_e32 vcc, 32, v22
	v_cndmask_b32_e32 v11, 0, v11, vcc
	v_cndmask_b32_e32 v10, 3, v10, vcc
	v_cmp_eq_u64_e64 s[16:17], 0, v[10:11]
	v_min_i32_e32 v11, 31, v22
	v_cmp_eq_u32_e32 vcc, 0, v22
	v_lshlrev_b32_e32 v11, 2, v11
	v_and_or_b32 v10, v10, 3, v11
	s_and_b64 s[16:17], vcc, s[16:17]
	v_cndmask_b32_e64 v10, v10, 0, s[16:17]
	v_or_b32_e32 v32, v10, v3
.LBB0_935:                              ;   in Loop: Header=BB0_707 Depth=2
	s_or_b64 exec, exec, s[50:51]
.LBB0_936:                              ;   in Loop: Header=BB0_707 Depth=2
	s_or_b64 exec, exec, s[48:49]
                                        ; implicit-def: $vgpr10
.LBB0_937:                              ;   in Loop: Header=BB0_707 Depth=2
	s_andn2_saveexec_b64 s[16:17], s[46:47]
; %bb.938:                              ;   in Loop: Header=BB0_707 Depth=2
	v_or_b32_sdwa v3, v10, s68 dst_sel:DWORD dst_unused:UNUSED_PAD src0_sel:BYTE_3 src1_sel:DWORD
	v_cmp_eq_u64_e32 vcc, 0, v[54:55]
	v_cndmask_b32_e32 v32, v3, v32, vcc
; %bb.939:                              ;   in Loop: Header=BB0_707 Depth=2
	s_or_b64 exec, exec, s[16:17]
	v_lshrrev_b32_e32 v10, 16, v2
	v_cmp_ne_u16_sdwa vcc, v10, v55 src0_sel:BYTE_0 src1_sel:DWORD
	v_mov_b32_e32 v3, 0
	v_mov_b32_e32 v11, 0
	s_and_saveexec_b64 s[16:17], vcc
	s_cbranch_execz .LBB0_947
; %bb.940:                              ;   in Loop: Header=BB0_707 Depth=2
	v_cmp_ne_u16_sdwa vcc, v10, s66 src0_sel:BYTE_0 src1_sel:DWORD
	v_bfrev_b32_e32 v11, 1
	s_and_saveexec_b64 s[46:47], vcc
	s_cbranch_execz .LBB0_946
; %bb.941:                              ;   in Loop: Header=BB0_707 Depth=2
	v_and_b32_e32 v11, 0x7c0000, v2
	v_bfe_u32 v22, v2, 16, 2
	v_cmp_ne_u32_e32 vcc, s69, v11
                                        ; implicit-def: $vgpr11
	s_and_saveexec_b64 s[48:49], vcc
	s_xor_b64 s[48:49], exec, s[48:49]
	s_cbranch_execz .LBB0_943
; %bb.942:                              ;   in Loop: Header=BB0_707 Depth=2
	v_ffbh_u32_e32 v11, v22
	v_min_u32_e32 v37, 32, v11
	v_subrev_u32_e32 v11, 29, v37
	v_bfe_u32 v36, v2, 18, 5
	v_lshlrev_b64 v[10:11], v11, v[10:11]
	v_sub_u32_e32 v11, 30, v37
	v_cmp_eq_u32_e32 vcc, 0, v36
	v_and_b32_e32 v10, 3, v10
	v_cndmask_b32_e32 v11, v36, v11, vcc
	v_cndmask_b32_e32 v10, v22, v10, vcc
	v_lshlrev_b32_e32 v22, 8, v2
	v_lshl_add_u32 v11, v11, 23, v7
	v_and_or_b32 v11, v22, s65, v11
	v_lshl_or_b32 v11, v10, 21, v11
                                        ; implicit-def: $vgpr22
                                        ; implicit-def: $vgpr10
.LBB0_943:                              ;   in Loop: Header=BB0_707 Depth=2
	s_andn2_saveexec_b64 s[48:49], s[48:49]
; %bb.944:                              ;   in Loop: Header=BB0_707 Depth=2
	v_cmp_gt_i16_sdwa vcc, sext(v10), v47 src0_sel:BYTE_0 src1_sel:DWORD
	v_cndmask_b32_e32 v10, v24, v25, vcc
	v_cmp_eq_u32_e32 vcc, 0, v22
	v_cndmask_b32_e32 v11, v6, v10, vcc
; %bb.945:                              ;   in Loop: Header=BB0_707 Depth=2
	s_or_b64 exec, exec, s[48:49]
.LBB0_946:                              ;   in Loop: Header=BB0_707 Depth=2
	s_or_b64 exec, exec, s[46:47]
.LBB0_947:                              ;   in Loop: Header=BB0_707 Depth=2
	s_or_b64 exec, exec, s[16:17]
	v_cmp_ne_u16_sdwa vcc, v28, v55 src0_sel:BYTE_0 src1_sel:DWORD
	s_and_saveexec_b64 s[16:17], vcc
	s_cbranch_execz .LBB0_955
; %bb.948:                              ;   in Loop: Header=BB0_707 Depth=2
	v_cmp_ne_u16_sdwa vcc, sext(v28), s63 src0_sel:BYTE_0 src1_sel:DWORD
	v_bfrev_b32_e32 v3, 1
	s_and_saveexec_b64 s[46:47], vcc
	s_cbranch_execz .LBB0_954
; %bb.949:                              ;   in Loop: Header=BB0_707 Depth=2
	v_and_b32_e32 v3, 0x7c, v28
	v_and_b32_e32 v10, 3, v28
	v_cmp_ne_u32_e32 vcc, s64, v3
                                        ; implicit-def: $vgpr3
	s_and_saveexec_b64 s[48:49], vcc
	s_xor_b64 s[48:49], exec, s[48:49]
	s_cbranch_execz .LBB0_951
; %bb.950:                              ;   in Loop: Header=BB0_707 Depth=2
	v_ffbh_u32_e32 v22, v10
	v_bfe_u32 v3, v28, 2, 5
	v_min_u32_e32 v22, 32, v22
	v_subrev_u32_e32 v36, 29, v22
	v_sub_u32_e32 v22, 30, v22
	v_cmp_eq_u32_e32 vcc, 0, v3
	v_lshlrev_b64 v[36:37], v36, v[28:29]
	v_cndmask_b32_e32 v3, v3, v22, vcc
	v_and_b32_e32 v36, 3, v36
	v_lshlrev_b32_e32 v22, 24, v28
	v_lshl_add_u32 v3, v3, 23, v7
	v_cndmask_b32_e32 v10, v10, v36, vcc
	v_and_or_b32 v3, v22, s65, v3
	v_lshl_or_b32 v3, v10, 21, v3
                                        ; implicit-def: $vgpr10
.LBB0_951:                              ;   in Loop: Header=BB0_707 Depth=2
	s_andn2_saveexec_b64 s[48:49], s[48:49]
; %bb.952:                              ;   in Loop: Header=BB0_707 Depth=2
	v_cmp_gt_i16_sdwa vcc, sext(v28), v47 src0_sel:BYTE_0 src1_sel:DWORD
	v_cndmask_b32_e32 v3, v24, v25, vcc
	v_cmp_eq_u32_e32 vcc, 0, v10
	v_cndmask_b32_e32 v3, v6, v3, vcc
; %bb.953:                              ;   in Loop: Header=BB0_707 Depth=2
	s_or_b64 exec, exec, s[48:49]
.LBB0_954:                              ;   in Loop: Header=BB0_707 Depth=2
	s_or_b64 exec, exec, s[46:47]
.LBB0_955:                              ;   in Loop: Header=BB0_707 Depth=2
	s_or_b64 exec, exec, s[16:17]
	v_add_f32_e32 v10, v11, v3
	v_and_b32_sdwa v3, v10, s66 dst_sel:DWORD dst_unused:UNUSED_PAD src0_sel:BYTE_3 src1_sel:DWORD
	v_and_b32_e32 v36, 0x7f800000, v10
	v_mov_b32_e32 v37, v55
	v_and_b32_e32 v54, 0x7fffff, v10
	v_or_b32_e32 v11, 0x7b, v3
	v_cmp_ne_u64_e32 vcc, s[38:39], v[36:37]
	s_and_saveexec_b64 s[16:17], vcc
	s_xor_b64 s[46:47], exec, s[16:17]
	s_cbranch_execz .LBB0_965
; %bb.956:                              ;   in Loop: Header=BB0_707 Depth=2
	v_and_b32_e32 v36, 0x7fffffff, v10
	v_mov_b32_e32 v37, v55
	v_cmp_gt_u64_e32 vcc, s[40:41], v[36:37]
	s_and_saveexec_b64 s[48:49], vcc
	s_cbranch_execz .LBB0_964
; %bb.957:                              ;   in Loop: Header=BB0_707 Depth=2
	v_cmp_ne_u32_e32 vcc, 0, v10
	v_mov_b32_e32 v11, 0
	s_and_saveexec_b64 s[50:51], vcc
	s_cbranch_execz .LBB0_963
; %bb.958:                              ;   in Loop: Header=BB0_707 Depth=2
	v_bfe_u32 v10, v10, 23, 8
	v_sub_u32_e32 v22, 0x71, v10
	v_cmp_gt_u32_e32 vcc, s67, v10
	v_cndmask_b32_e32 v22, 0, v22, vcc
	v_cmp_eq_u32_e32 vcc, 0, v10
	v_or_b32_e32 v36, 0x800000, v54
	v_cndmask_b32_e32 v22, v22, v49, vcc
	v_add_u32_e32 v11, 0xffffff81, v10
	v_cndmask_b32_e32 v54, v36, v54, vcc
	v_add_u32_e32 v10, 21, v22
	v_cndmask_b32_e32 v37, v11, v48, vcc
	v_lshlrev_b64 v[10:11], v10, -1
	v_add_u32_e32 v36, 20, v22
	v_lshrrev_b64 v[60:61], v22, v[54:55]
	v_not_b32_e32 v11, v11
	v_not_b32_e32 v10, v10
	v_lshlrev_b64 v[40:41], v36, 1
	v_lshrrev_b32_e32 v36, 23, v60
	v_and_b32_e32 v11, 0, v11
	v_and_b32_e32 v10, v54, v10
	v_add3_u32 v37, v22, v37, v36
	v_bfe_u32 v22, v60, 21, 1
	v_add_u32_e32 v22, -1, v22
	v_cmp_eq_u64_e32 vcc, v[10:11], v[40:41]
	v_cndmask_b32_e32 v10, 0, v22, vcc
	v_add_u32_e32 v10, v10, v60
	v_and_b32_e32 v10, 0x1fffff, v10
	v_add_co_u32_e32 v10, vcc, v10, v60
	v_add_u32_e32 v36, 14, v37
	v_addc_co_u32_e32 v11, vcc, 0, v61, vcc
	v_cmp_ne_u32_e32 vcc, 0, v36
                                        ; implicit-def: $vgpr22
	s_and_saveexec_b64 s[16:17], vcc
	s_xor_b64 s[16:17], exec, s[16:17]
; %bb.959:                              ;   in Loop: Header=BB0_707 Depth=2
	v_add_u32_e32 v22, 15, v37
	v_cmp_lt_u64_e32 vcc, s[42:43], v[10:11]
	v_cndmask_b32_e32 v22, v36, v22, vcc
	v_cndmask_b32_e64 v36, 0, 1, vcc
	v_lshrrev_b64 v[10:11], v36, v[10:11]
; %bb.960:                              ;   in Loop: Header=BB0_707 Depth=2
	s_andn2_saveexec_b64 s[16:17], s[16:17]
; %bb.961:                              ;   in Loop: Header=BB0_707 Depth=2
	v_bfe_u32 v22, v10, 23, 1
; %bb.962:                              ;   in Loop: Header=BB0_707 Depth=2
	s_or_b64 exec, exec, s[16:17]
	v_lshrrev_b64 v[10:11], 21, v[10:11]
	v_cmp_gt_i32_e32 vcc, 32, v22
	v_cndmask_b32_e32 v11, 0, v11, vcc
	v_cndmask_b32_e32 v10, 3, v10, vcc
	v_cmp_eq_u64_e64 s[16:17], 0, v[10:11]
	v_min_i32_e32 v11, 31, v22
	v_cmp_eq_u32_e32 vcc, 0, v22
	v_lshlrev_b32_e32 v11, 2, v11
	v_and_or_b32 v10, v10, 3, v11
	s_and_b64 s[16:17], vcc, s[16:17]
	v_cndmask_b32_e64 v10, v10, 0, s[16:17]
	v_or_b32_e32 v11, v10, v3
.LBB0_963:                              ;   in Loop: Header=BB0_707 Depth=2
	s_or_b64 exec, exec, s[50:51]
.LBB0_964:                              ;   in Loop: Header=BB0_707 Depth=2
	s_or_b64 exec, exec, s[48:49]
                                        ; implicit-def: $vgpr10
.LBB0_965:                              ;   in Loop: Header=BB0_707 Depth=2
	s_andn2_saveexec_b64 s[16:17], s[46:47]
; %bb.966:                              ;   in Loop: Header=BB0_707 Depth=2
	v_or_b32_sdwa v3, v10, s68 dst_sel:DWORD dst_unused:UNUSED_PAD src0_sel:BYTE_3 src1_sel:DWORD
	v_cmp_eq_u64_e32 vcc, 0, v[54:55]
	v_cndmask_b32_e32 v11, v3, v11, vcc
; %bb.967:                              ;   in Loop: Header=BB0_707 Depth=2
	s_or_b64 exec, exec, s[16:17]
	v_cmp_lt_u32_e32 vcc, s37, v2
	v_mov_b32_e32 v22, 0
	v_mov_b32_e32 v3, 0
	s_and_saveexec_b64 s[16:17], vcc
	s_cbranch_execz .LBB0_975
; %bb.968:                              ;   in Loop: Header=BB0_707 Depth=2
	v_lshrrev_b32_e32 v10, 24, v2
	v_cmp_ne_u32_e32 vcc, s66, v10
	v_bfrev_b32_e32 v3, 1
	s_and_saveexec_b64 s[46:47], vcc
	s_cbranch_execz .LBB0_974
; %bb.969:                              ;   in Loop: Header=BB0_707 Depth=2
	v_and_b32_e32 v3, 0x7c000000, v2
	v_bfe_u32 v36, v2, 24, 2
	v_cmp_ne_u32_e32 vcc, s70, v3
                                        ; implicit-def: $vgpr3
	s_and_saveexec_b64 s[48:49], vcc
	s_xor_b64 s[48:49], exec, s[48:49]
	s_cbranch_execz .LBB0_971
; %bb.970:                              ;   in Loop: Header=BB0_707 Depth=2
	v_ffbh_u32_e32 v37, v36
	v_min_u32_e32 v37, 32, v37
	v_bfe_u32 v3, v2, 26, 5
	v_subrev_u32_e32 v38, 29, v37
	v_lshlrev_b64 v[40:41], v38, v[10:11]
	v_sub_u32_e32 v10, 30, v37
	v_cmp_eq_u32_e32 vcc, 0, v3
	v_cndmask_b32_e32 v3, v3, v10, vcc
	v_and_b32_e32 v37, 3, v40
	v_lshl_add_u32 v3, v3, 23, v7
	v_cndmask_b32_e32 v10, v36, v37, vcc
	v_and_or_b32 v2, v2, s65, v3
	v_lshl_or_b32 v3, v10, 21, v2
                                        ; implicit-def: $vgpr36
.LBB0_971:                              ;   in Loop: Header=BB0_707 Depth=2
	s_andn2_saveexec_b64 s[48:49], s[48:49]
; %bb.972:                              ;   in Loop: Header=BB0_707 Depth=2
	v_cmp_lt_i32_e32 vcc, -1, v2
	v_cndmask_b32_e32 v2, v24, v25, vcc
	v_cmp_eq_u32_e32 vcc, 0, v36
	v_cndmask_b32_e32 v3, v6, v2, vcc
; %bb.973:                              ;   in Loop: Header=BB0_707 Depth=2
	s_or_b64 exec, exec, s[48:49]
.LBB0_974:                              ;   in Loop: Header=BB0_707 Depth=2
	s_or_b64 exec, exec, s[46:47]
.LBB0_975:                              ;   in Loop: Header=BB0_707 Depth=2
	s_or_b64 exec, exec, s[16:17]
	v_lshlrev_b32_e32 v36, 8, v31
	v_and_b32_e32 v37, 0xff00, v36
	v_cmp_ne_u32_e32 vcc, 0, v37
	s_and_saveexec_b64 s[16:17], vcc
	s_cbranch_execz .LBB0_983
; %bb.976:                              ;   in Loop: Header=BB0_707 Depth=2
	v_cmp_ne_u32_e32 vcc, s74, v37
	v_bfrev_b32_e32 v22, 1
	s_and_saveexec_b64 s[46:47], vcc
	s_cbranch_execz .LBB0_982
; %bb.977:                              ;   in Loop: Header=BB0_707 Depth=2
	v_and_or_b32 v10, v28, s62, v37
	v_and_b32_e32 v22, 0x7c, v31
	v_bfe_u32 v2, v37, 8, 2
	v_lshlrev_b32_e32 v10, 16, v10
	v_cmp_ne_u32_e32 vcc, s64, v22
                                        ; implicit-def: $vgpr22
	s_and_saveexec_b64 s[48:49], vcc
	s_xor_b64 s[48:49], exec, s[48:49]
	s_cbranch_execz .LBB0_979
; %bb.978:                              ;   in Loop: Header=BB0_707 Depth=2
	v_ffbh_u32_e32 v31, v2
	v_min_u32_e32 v31, 32, v31
	v_lshrrev_b32_e32 v22, 8, v37
	v_bfe_u32 v28, v36, 10, 5
	v_subrev_u32_e32 v36, 29, v31
	v_lshlrev_b64 v[36:37], v36, v[22:23]
	v_sub_u32_e32 v22, 30, v31
	v_cmp_eq_u32_e32 vcc, 0, v28
	v_cndmask_b32_e32 v22, v28, v22, vcc
	v_and_b32_e32 v31, 3, v36
	v_lshl_add_u32 v22, v22, 23, v7
	v_cndmask_b32_e32 v2, v2, v31, vcc
	v_and_or_b32 v10, v10, s65, v22
	v_lshl_or_b32 v22, v2, 21, v10
                                        ; implicit-def: $vgpr2
                                        ; implicit-def: $vgpr10
.LBB0_979:                              ;   in Loop: Header=BB0_707 Depth=2
	s_andn2_saveexec_b64 s[48:49], s[48:49]
; %bb.980:                              ;   in Loop: Header=BB0_707 Depth=2
	v_cmp_lt_i32_e32 vcc, -1, v10
	v_cndmask_b32_e32 v10, v24, v25, vcc
	v_cmp_eq_u32_e32 vcc, 0, v2
	v_cndmask_b32_e32 v22, v6, v10, vcc
; %bb.981:                              ;   in Loop: Header=BB0_707 Depth=2
	s_or_b64 exec, exec, s[48:49]
.LBB0_982:                              ;   in Loop: Header=BB0_707 Depth=2
	s_or_b64 exec, exec, s[46:47]
.LBB0_983:                              ;   in Loop: Header=BB0_707 Depth=2
	s_or_b64 exec, exec, s[16:17]
	v_add_f32_e32 v2, v3, v22
	v_and_b32_sdwa v10, v2, s66 dst_sel:DWORD dst_unused:UNUSED_PAD src0_sel:BYTE_3 src1_sel:DWORD
	v_and_b32_e32 v36, 0x7f800000, v2
	v_mov_b32_e32 v37, v55
	v_and_b32_e32 v54, 0x7fffff, v2
	v_or_b32_e32 v22, 0x7b, v10
	v_cmp_ne_u64_e32 vcc, s[38:39], v[36:37]
	s_and_saveexec_b64 s[16:17], vcc
	s_xor_b64 s[46:47], exec, s[16:17]
	s_cbranch_execz .LBB0_993
; %bb.984:                              ;   in Loop: Header=BB0_707 Depth=2
	v_and_b32_e32 v36, 0x7fffffff, v2
	v_mov_b32_e32 v37, v55
	v_cmp_gt_u64_e32 vcc, s[40:41], v[36:37]
	s_and_saveexec_b64 s[48:49], vcc
	s_cbranch_execz .LBB0_992
; %bb.985:                              ;   in Loop: Header=BB0_707 Depth=2
	v_cmp_ne_u32_e32 vcc, 0, v2
	v_mov_b32_e32 v22, 0
	s_and_saveexec_b64 s[50:51], vcc
	s_cbranch_execz .LBB0_991
; %bb.986:                              ;   in Loop: Header=BB0_707 Depth=2
	v_bfe_u32 v2, v2, 23, 8
	v_sub_u32_e32 v22, 0x71, v2
	v_cmp_gt_u32_e32 vcc, s67, v2
	v_cndmask_b32_e32 v22, 0, v22, vcc
	v_cmp_eq_u32_e32 vcc, 0, v2
	v_or_b32_e32 v28, 0x800000, v54
	v_cndmask_b32_e32 v22, v22, v49, vcc
	v_add_u32_e32 v3, 0xffffff81, v2
	v_cndmask_b32_e32 v54, v28, v54, vcc
	v_add_u32_e32 v2, 21, v22
	v_cndmask_b32_e32 v31, v3, v48, vcc
	v_lshlrev_b64 v[2:3], v2, -1
	v_add_u32_e32 v28, 20, v22
	v_lshrrev_b64 v[40:41], v22, v[54:55]
	v_not_b32_e32 v3, v3
	v_not_b32_e32 v2, v2
	v_lshlrev_b64 v[36:37], v28, 1
	v_lshrrev_b32_e32 v28, 23, v40
	v_and_b32_e32 v3, 0, v3
	v_and_b32_e32 v2, v54, v2
	v_add3_u32 v31, v22, v31, v28
	v_bfe_u32 v22, v40, 21, 1
	v_add_u32_e32 v22, -1, v22
	v_cmp_eq_u64_e32 vcc, v[2:3], v[36:37]
	v_cndmask_b32_e32 v2, 0, v22, vcc
	v_add_u32_e32 v2, v2, v40
	v_and_b32_e32 v2, 0x1fffff, v2
	v_add_co_u32_e32 v2, vcc, v2, v40
	v_add_u32_e32 v28, 14, v31
	v_addc_co_u32_e32 v3, vcc, 0, v41, vcc
	v_cmp_ne_u32_e32 vcc, 0, v28
                                        ; implicit-def: $vgpr22
	s_and_saveexec_b64 s[16:17], vcc
	s_xor_b64 s[16:17], exec, s[16:17]
; %bb.987:                              ;   in Loop: Header=BB0_707 Depth=2
	v_add_u32_e32 v22, 15, v31
	v_cmp_lt_u64_e32 vcc, s[42:43], v[2:3]
	v_cndmask_b32_e32 v22, v28, v22, vcc
	v_cndmask_b32_e64 v28, 0, 1, vcc
	v_lshrrev_b64 v[2:3], v28, v[2:3]
; %bb.988:                              ;   in Loop: Header=BB0_707 Depth=2
	s_andn2_saveexec_b64 s[16:17], s[16:17]
; %bb.989:                              ;   in Loop: Header=BB0_707 Depth=2
	v_bfe_u32 v22, v2, 23, 1
; %bb.990:                              ;   in Loop: Header=BB0_707 Depth=2
	s_or_b64 exec, exec, s[16:17]
	v_lshrrev_b64 v[2:3], 21, v[2:3]
	v_cmp_gt_i32_e32 vcc, 32, v22
	v_cndmask_b32_e32 v3, 0, v3, vcc
	v_cndmask_b32_e32 v2, 3, v2, vcc
	v_cmp_eq_u64_e64 s[16:17], 0, v[2:3]
	v_min_i32_e32 v3, 31, v22
	v_cmp_eq_u32_e32 vcc, 0, v22
	v_lshlrev_b32_e32 v3, 2, v3
	v_and_or_b32 v2, v2, 3, v3
	s_and_b64 s[16:17], vcc, s[16:17]
	v_cndmask_b32_e64 v2, v2, 0, s[16:17]
	v_or_b32_e32 v22, v2, v10
.LBB0_991:                              ;   in Loop: Header=BB0_707 Depth=2
	s_or_b64 exec, exec, s[50:51]
.LBB0_992:                              ;   in Loop: Header=BB0_707 Depth=2
	s_or_b64 exec, exec, s[48:49]
                                        ; implicit-def: $vgpr2
.LBB0_993:                              ;   in Loop: Header=BB0_707 Depth=2
	s_andn2_saveexec_b64 s[16:17], s[46:47]
; %bb.994:                              ;   in Loop: Header=BB0_707 Depth=2
	v_or_b32_sdwa v2, v2, s68 dst_sel:DWORD dst_unused:UNUSED_PAD src0_sel:BYTE_3 src1_sel:DWORD
	v_cmp_eq_u64_e32 vcc, 0, v[54:55]
	v_cndmask_b32_e32 v22, v2, v22, vcc
; %bb.995:                              ;   in Loop: Header=BB0_707 Depth=2
	s_or_b64 exec, exec, s[16:17]
	v_cmp_ne_u16_sdwa vcc, v4, v55 src0_sel:BYTE_0 src1_sel:DWORD
	v_mov_b32_e32 v3, 0
	v_mov_b32_e32 v2, 0
	s_and_saveexec_b64 s[16:17], vcc
	s_cbranch_execz .LBB0_1003
; %bb.996:                              ;   in Loop: Header=BB0_707 Depth=2
	v_cmp_ne_u16_sdwa vcc, sext(v4), s63 src0_sel:BYTE_0 src1_sel:DWORD
	v_bfrev_b32_e32 v2, 1
	s_and_saveexec_b64 s[46:47], vcc
	s_cbranch_execz .LBB0_1002
; %bb.997:                              ;   in Loop: Header=BB0_707 Depth=2
	v_and_b32_e32 v2, 0x7c, v4
	v_and_b32_e32 v10, 3, v4
	v_cmp_ne_u32_e32 vcc, s64, v2
                                        ; implicit-def: $vgpr2
	s_and_saveexec_b64 s[48:49], vcc
	s_xor_b64 s[48:49], exec, s[48:49]
	s_cbranch_execz .LBB0_999
; %bb.998:                              ;   in Loop: Header=BB0_707 Depth=2
	v_ffbh_u32_e32 v28, v10
	v_min_u32_e32 v28, 32, v28
	v_bfe_u32 v2, v4, 2, 5
	v_subrev_u32_e32 v31, 29, v28
	v_lshlrev_b64 v[36:37], v31, v[4:5]
	v_sub_u32_e32 v5, 30, v28
	v_cmp_eq_u32_e32 vcc, 0, v2
	v_and_b32_e32 v28, 3, v36
	v_cndmask_b32_e32 v2, v2, v5, vcc
	v_cndmask_b32_e32 v5, v10, v28, vcc
	v_lshlrev_b32_e32 v10, 24, v4
	v_lshl_add_u32 v2, v2, 23, v7
	v_and_or_b32 v2, v10, s65, v2
	v_lshl_or_b32 v2, v5, 21, v2
                                        ; implicit-def: $vgpr10
.LBB0_999:                              ;   in Loop: Header=BB0_707 Depth=2
	s_andn2_saveexec_b64 s[48:49], s[48:49]
; %bb.1000:                             ;   in Loop: Header=BB0_707 Depth=2
	v_cmp_gt_i16_sdwa vcc, sext(v4), v47 src0_sel:BYTE_0 src1_sel:DWORD
	v_cndmask_b32_e32 v2, v24, v25, vcc
	v_cmp_eq_u32_e32 vcc, 0, v10
	v_cndmask_b32_e32 v2, v6, v2, vcc
; %bb.1001:                             ;   in Loop: Header=BB0_707 Depth=2
	s_or_b64 exec, exec, s[48:49]
.LBB0_1002:                             ;   in Loop: Header=BB0_707 Depth=2
	s_or_b64 exec, exec, s[46:47]
.LBB0_1003:                             ;   in Loop: Header=BB0_707 Depth=2
	s_or_b64 exec, exec, s[16:17]
	v_lshlrev_b32_e32 v5, 8, v33
	v_lshlrev_b32_e32 v23, 24, v23
	v_perm_b32 v10, v5, v29, s71
	v_lshl_or_b32 v28, v27, 16, v23
	v_cmp_ne_u16_sdwa vcc, v29, v55 src0_sel:BYTE_0 src1_sel:DWORD
	s_and_saveexec_b64 s[16:17], vcc
	s_cbranch_execz .LBB0_1011
; %bb.1004:                             ;   in Loop: Header=BB0_707 Depth=2
	v_cmp_ne_u16_sdwa vcc, sext(v29), s63 src0_sel:BYTE_0 src1_sel:DWORD
	v_bfrev_b32_e32 v3, 1
	s_and_saveexec_b64 s[46:47], vcc
	s_cbranch_execz .LBB0_1010
; %bb.1005:                             ;   in Loop: Header=BB0_707 Depth=2
	v_and_b32_e32 v3, 0x7c, v29
	v_and_b32_e32 v5, 3, v29
	v_cmp_ne_u32_e32 vcc, s64, v3
                                        ; implicit-def: $vgpr3
	s_and_saveexec_b64 s[48:49], vcc
	s_xor_b64 s[48:49], exec, s[48:49]
	s_cbranch_execz .LBB0_1007
; %bb.1006:                             ;   in Loop: Header=BB0_707 Depth=2
	v_ffbh_u32_e32 v31, v5
	v_bfe_u32 v3, v29, 2, 5
	v_min_u32_e32 v31, 32, v31
	v_or_b32_e32 v36, v28, v10
	v_subrev_u32_e32 v33, 29, v31
	v_sub_u32_e32 v31, 30, v31
	v_cmp_eq_u32_e32 vcc, 0, v3
	v_lshlrev_b64 v[36:37], v33, v[36:37]
	v_cndmask_b32_e32 v3, v3, v31, vcc
	v_and_b32_e32 v33, 3, v36
	v_lshlrev_b32_e32 v29, 24, v29
	v_lshl_add_u32 v3, v3, 23, v7
	v_cndmask_b32_e32 v5, v5, v33, vcc
	v_and_or_b32 v3, v29, s65, v3
	v_lshl_or_b32 v3, v5, 21, v3
                                        ; implicit-def: $vgpr5
                                        ; implicit-def: $vgpr29
.LBB0_1007:                             ;   in Loop: Header=BB0_707 Depth=2
	s_andn2_saveexec_b64 s[48:49], s[48:49]
; %bb.1008:                             ;   in Loop: Header=BB0_707 Depth=2
	v_cmp_gt_i16_sdwa vcc, sext(v29), v47 src0_sel:BYTE_0 src1_sel:DWORD
	v_cndmask_b32_e32 v3, v24, v25, vcc
	v_cmp_eq_u32_e32 vcc, 0, v5
	v_cndmask_b32_e32 v3, v6, v3, vcc
; %bb.1009:                             ;   in Loop: Header=BB0_707 Depth=2
	s_or_b64 exec, exec, s[48:49]
.LBB0_1010:                             ;   in Loop: Header=BB0_707 Depth=2
	s_or_b64 exec, exec, s[46:47]
.LBB0_1011:                             ;   in Loop: Header=BB0_707 Depth=2
	s_or_b64 exec, exec, s[16:17]
	v_add_f32_e32 v2, v2, v3
	v_and_b32_sdwa v29, v2, s66 dst_sel:DWORD dst_unused:UNUSED_PAD src0_sel:BYTE_3 src1_sel:DWORD
	v_and_b32_e32 v36, 0x7f800000, v2
	v_mov_b32_e32 v37, v55
	v_and_b32_e32 v54, 0x7fffff, v2
	v_or_b32_e32 v5, 0x7b, v29
	v_cmp_ne_u64_e32 vcc, s[38:39], v[36:37]
	s_and_saveexec_b64 s[16:17], vcc
	s_xor_b64 s[46:47], exec, s[16:17]
	s_cbranch_execz .LBB0_1021
; %bb.1012:                             ;   in Loop: Header=BB0_707 Depth=2
	v_and_b32_e32 v36, 0x7fffffff, v2
	v_mov_b32_e32 v37, v55
	v_cmp_gt_u64_e32 vcc, s[40:41], v[36:37]
	s_and_saveexec_b64 s[48:49], vcc
	s_cbranch_execz .LBB0_1020
; %bb.1013:                             ;   in Loop: Header=BB0_707 Depth=2
	v_cmp_ne_u32_e32 vcc, 0, v2
	v_mov_b32_e32 v5, 0
	s_and_saveexec_b64 s[50:51], vcc
	s_cbranch_execz .LBB0_1019
; %bb.1014:                             ;   in Loop: Header=BB0_707 Depth=2
	v_bfe_u32 v2, v2, 23, 8
	v_sub_u32_e32 v5, 0x71, v2
	v_cmp_gt_u32_e32 vcc, s67, v2
	v_cndmask_b32_e32 v5, 0, v5, vcc
	v_cmp_eq_u32_e32 vcc, 0, v2
	v_or_b32_e32 v31, 0x800000, v54
	v_cndmask_b32_e32 v5, v5, v49, vcc
	v_add_u32_e32 v3, 0xffffff81, v2
	v_cndmask_b32_e32 v54, v31, v54, vcc
	v_add_u32_e32 v2, 21, v5
	v_cndmask_b32_e32 v33, v3, v48, vcc
	v_lshlrev_b64 v[2:3], v2, -1
	v_add_u32_e32 v31, 20, v5
	v_lshrrev_b64 v[40:41], v5, v[54:55]
	v_not_b32_e32 v3, v3
	v_not_b32_e32 v2, v2
	v_lshlrev_b64 v[36:37], v31, 1
	v_lshrrev_b32_e32 v31, 23, v40
	v_and_b32_e32 v3, 0, v3
	v_and_b32_e32 v2, v54, v2
	v_add3_u32 v33, v5, v33, v31
	v_bfe_u32 v5, v40, 21, 1
	v_add_u32_e32 v5, -1, v5
	v_cmp_eq_u64_e32 vcc, v[2:3], v[36:37]
	v_cndmask_b32_e32 v2, 0, v5, vcc
	v_add_u32_e32 v2, v2, v40
	v_and_b32_e32 v2, 0x1fffff, v2
	v_add_co_u32_e32 v2, vcc, v2, v40
	v_add_u32_e32 v31, 14, v33
	v_addc_co_u32_e32 v3, vcc, 0, v41, vcc
	v_cmp_ne_u32_e32 vcc, 0, v31
                                        ; implicit-def: $vgpr5
	s_and_saveexec_b64 s[16:17], vcc
	s_xor_b64 s[16:17], exec, s[16:17]
; %bb.1015:                             ;   in Loop: Header=BB0_707 Depth=2
	v_add_u32_e32 v5, 15, v33
	v_cmp_lt_u64_e32 vcc, s[42:43], v[2:3]
	v_cndmask_b32_e32 v5, v31, v5, vcc
	v_cndmask_b32_e64 v31, 0, 1, vcc
	v_lshrrev_b64 v[2:3], v31, v[2:3]
; %bb.1016:                             ;   in Loop: Header=BB0_707 Depth=2
	s_andn2_saveexec_b64 s[16:17], s[16:17]
; %bb.1017:                             ;   in Loop: Header=BB0_707 Depth=2
	v_bfe_u32 v5, v2, 23, 1
; %bb.1018:                             ;   in Loop: Header=BB0_707 Depth=2
	s_or_b64 exec, exec, s[16:17]
	v_lshrrev_b64 v[2:3], 21, v[2:3]
	v_cmp_gt_i32_e32 vcc, 32, v5
	v_cndmask_b32_e32 v3, 0, v3, vcc
	v_cndmask_b32_e32 v2, 3, v2, vcc
	v_cmp_eq_u64_e64 s[16:17], 0, v[2:3]
	v_min_i32_e32 v3, 31, v5
	v_cmp_eq_u32_e32 vcc, 0, v5
	v_lshlrev_b32_e32 v3, 2, v3
	v_and_or_b32 v2, v2, 3, v3
	s_and_b64 s[16:17], vcc, s[16:17]
	v_cndmask_b32_e64 v2, v2, 0, s[16:17]
	v_or_b32_e32 v5, v2, v29
.LBB0_1019:                             ;   in Loop: Header=BB0_707 Depth=2
	s_or_b64 exec, exec, s[50:51]
.LBB0_1020:                             ;   in Loop: Header=BB0_707 Depth=2
	s_or_b64 exec, exec, s[48:49]
                                        ; implicit-def: $vgpr2
.LBB0_1021:                             ;   in Loop: Header=BB0_707 Depth=2
	s_andn2_saveexec_b64 s[16:17], s[46:47]
; %bb.1022:                             ;   in Loop: Header=BB0_707 Depth=2
	v_or_b32_sdwa v2, v2, s68 dst_sel:DWORD dst_unused:UNUSED_PAD src0_sel:BYTE_3 src1_sel:DWORD
	v_cmp_eq_u64_e32 vcc, 0, v[54:55]
	v_cndmask_b32_e32 v5, v2, v5, vcc
; %bb.1023:                             ;   in Loop: Header=BB0_707 Depth=2
	s_or_b64 exec, exec, s[16:17]
	v_lshrrev_b16_e32 v54, 8, v4
	v_cmp_ne_u16_e32 vcc, 0, v54
	v_mov_b32_e32 v2, 0
	v_mov_b32_e32 v3, 0
	s_and_saveexec_b64 s[16:17], vcc
	s_cbranch_execz .LBB0_1031
; %bb.1024:                             ;   in Loop: Header=BB0_707 Depth=2
	v_cmp_ne_u16_e32 vcc, s66, v54
	v_bfrev_b32_e32 v3, 1
	s_and_saveexec_b64 s[46:47], vcc
	s_cbranch_execz .LBB0_1030
; %bb.1025:                             ;   in Loop: Header=BB0_707 Depth=2
	v_and_b32_e32 v3, 0x7c, v54
	v_and_b32_e32 v29, 3, v54
	v_cmp_ne_u32_e32 vcc, s64, v3
                                        ; implicit-def: $vgpr3
	s_and_saveexec_b64 s[48:49], vcc
	s_xor_b64 s[48:49], exec, s[48:49]
	s_cbranch_execz .LBB0_1027
; %bb.1026:                             ;   in Loop: Header=BB0_707 Depth=2
	v_ffbh_u32_e32 v31, v29
	v_bfe_u32 v3, v54, 2, 5
	v_min_u32_e32 v31, 32, v31
	v_subrev_u32_e32 v33, 29, v31
	v_sub_u32_e32 v31, 30, v31
	v_cmp_eq_u32_e32 vcc, 0, v3
	v_lshlrev_b64 v[36:37], v33, v[54:55]
	v_cndmask_b32_e32 v3, v3, v31, vcc
	v_and_b32_e32 v33, 3, v36
	v_lshlrev_b32_e32 v31, 16, v4
	v_lshl_add_u32 v3, v3, 23, v7
	v_cndmask_b32_e32 v29, v29, v33, vcc
	v_and_or_b32 v3, v31, s65, v3
	v_lshl_or_b32 v3, v29, 21, v3
                                        ; implicit-def: $vgpr29
.LBB0_1027:                             ;   in Loop: Header=BB0_707 Depth=2
	s_andn2_saveexec_b64 s[48:49], s[48:49]
; %bb.1028:                             ;   in Loop: Header=BB0_707 Depth=2
	v_cmp_lt_i16_e32 vcc, -1, v4
	v_cndmask_b32_e32 v3, v24, v25, vcc
	v_cmp_eq_u32_e32 vcc, 0, v29
	v_cndmask_b32_e32 v3, v6, v3, vcc
; %bb.1029:                             ;   in Loop: Header=BB0_707 Depth=2
	s_or_b64 exec, exec, s[48:49]
.LBB0_1030:                             ;   in Loop: Header=BB0_707 Depth=2
	s_or_b64 exec, exec, s[46:47]
.LBB0_1031:                             ;   in Loop: Header=BB0_707 Depth=2
	s_or_b64 exec, exec, s[16:17]
	v_lshrrev_b16_e32 v54, 8, v10
	v_cmp_ne_u16_e32 vcc, 0, v54
	s_and_saveexec_b64 s[16:17], vcc
	s_cbranch_execz .LBB0_1039
; %bb.1032:                             ;   in Loop: Header=BB0_707 Depth=2
	v_cmp_ne_u16_e32 vcc, s66, v54
	v_bfrev_b32_e32 v2, 1
	s_and_saveexec_b64 s[46:47], vcc
	s_cbranch_execz .LBB0_1038
; %bb.1033:                             ;   in Loop: Header=BB0_707 Depth=2
	v_and_b32_e32 v2, 0x7c, v54
	v_and_b32_e32 v29, 3, v54
	v_cmp_ne_u32_e32 vcc, s64, v2
                                        ; implicit-def: $vgpr2
	s_and_saveexec_b64 s[48:49], vcc
	s_xor_b64 s[48:49], exec, s[48:49]
	s_cbranch_execz .LBB0_1035
; %bb.1034:                             ;   in Loop: Header=BB0_707 Depth=2
	v_ffbh_u32_e32 v31, v29
	v_bfe_u32 v2, v54, 2, 5
	v_min_u32_e32 v31, 32, v31
	v_subrev_u32_e32 v33, 29, v31
	v_sub_u32_e32 v31, 30, v31
	v_cmp_eq_u32_e32 vcc, 0, v2
	v_lshlrev_b64 v[36:37], v33, v[54:55]
	v_cndmask_b32_e32 v2, v2, v31, vcc
	v_and_b32_e32 v33, 3, v36
	v_lshlrev_b32_e32 v10, 16, v10
	v_lshl_add_u32 v2, v2, 23, v7
	v_cndmask_b32_e32 v29, v29, v33, vcc
	v_and_or_b32 v2, v10, s65, v2
	v_lshl_or_b32 v2, v29, 21, v2
                                        ; implicit-def: $vgpr29
                                        ; implicit-def: $vgpr10
.LBB0_1035:                             ;   in Loop: Header=BB0_707 Depth=2
	s_andn2_saveexec_b64 s[48:49], s[48:49]
; %bb.1036:                             ;   in Loop: Header=BB0_707 Depth=2
	v_cmp_lt_i16_e32 vcc, -1, v10
	v_cndmask_b32_e32 v2, v24, v25, vcc
	v_cmp_eq_u32_e32 vcc, 0, v29
	v_cndmask_b32_e32 v2, v6, v2, vcc
; %bb.1037:                             ;   in Loop: Header=BB0_707 Depth=2
	s_or_b64 exec, exec, s[48:49]
.LBB0_1038:                             ;   in Loop: Header=BB0_707 Depth=2
	s_or_b64 exec, exec, s[46:47]
.LBB0_1039:                             ;   in Loop: Header=BB0_707 Depth=2
	s_or_b64 exec, exec, s[16:17]
	v_add_f32_e32 v2, v3, v2
	v_and_b32_sdwa v10, v2, s66 dst_sel:DWORD dst_unused:UNUSED_PAD src0_sel:BYTE_3 src1_sel:DWORD
	v_and_b32_e32 v36, 0x7f800000, v2
	v_mov_b32_e32 v37, v55
	v_and_b32_e32 v54, 0x7fffff, v2
	v_or_b32_e32 v29, 0x7b, v10
	v_cmp_ne_u64_e32 vcc, s[38:39], v[36:37]
	s_and_saveexec_b64 s[16:17], vcc
	s_xor_b64 s[46:47], exec, s[16:17]
	s_cbranch_execz .LBB0_1049
; %bb.1040:                             ;   in Loop: Header=BB0_707 Depth=2
	v_and_b32_e32 v36, 0x7fffffff, v2
	v_mov_b32_e32 v37, v55
	v_cmp_gt_u64_e32 vcc, s[40:41], v[36:37]
	s_and_saveexec_b64 s[48:49], vcc
	s_cbranch_execz .LBB0_1048
; %bb.1041:                             ;   in Loop: Header=BB0_707 Depth=2
	v_cmp_ne_u32_e32 vcc, 0, v2
	v_mov_b32_e32 v29, 0
	s_and_saveexec_b64 s[50:51], vcc
	s_cbranch_execz .LBB0_1047
; %bb.1042:                             ;   in Loop: Header=BB0_707 Depth=2
	v_bfe_u32 v2, v2, 23, 8
	v_sub_u32_e32 v29, 0x71, v2
	v_cmp_gt_u32_e32 vcc, s67, v2
	v_cndmask_b32_e32 v29, 0, v29, vcc
	v_cmp_eq_u32_e32 vcc, 0, v2
	v_or_b32_e32 v31, 0x800000, v54
	v_cndmask_b32_e32 v29, v29, v49, vcc
	v_add_u32_e32 v3, 0xffffff81, v2
	v_cndmask_b32_e32 v54, v31, v54, vcc
	v_add_u32_e32 v2, 21, v29
	v_cndmask_b32_e32 v33, v3, v48, vcc
	v_lshlrev_b64 v[2:3], v2, -1
	v_add_u32_e32 v31, 20, v29
	v_lshrrev_b64 v[40:41], v29, v[54:55]
	v_not_b32_e32 v3, v3
	v_not_b32_e32 v2, v2
	v_lshlrev_b64 v[36:37], v31, 1
	v_lshrrev_b32_e32 v31, 23, v40
	v_and_b32_e32 v3, 0, v3
	v_and_b32_e32 v2, v54, v2
	v_add3_u32 v33, v29, v33, v31
	v_bfe_u32 v29, v40, 21, 1
	v_add_u32_e32 v29, -1, v29
	v_cmp_eq_u64_e32 vcc, v[2:3], v[36:37]
	v_cndmask_b32_e32 v2, 0, v29, vcc
	v_add_u32_e32 v2, v2, v40
	v_and_b32_e32 v2, 0x1fffff, v2
	v_add_co_u32_e32 v2, vcc, v2, v40
	v_add_u32_e32 v31, 14, v33
	v_addc_co_u32_e32 v3, vcc, 0, v41, vcc
	v_cmp_ne_u32_e32 vcc, 0, v31
                                        ; implicit-def: $vgpr29
	s_and_saveexec_b64 s[16:17], vcc
	s_xor_b64 s[16:17], exec, s[16:17]
; %bb.1043:                             ;   in Loop: Header=BB0_707 Depth=2
	v_add_u32_e32 v29, 15, v33
	v_cmp_lt_u64_e32 vcc, s[42:43], v[2:3]
	v_cndmask_b32_e32 v29, v31, v29, vcc
	v_cndmask_b32_e64 v31, 0, 1, vcc
	v_lshrrev_b64 v[2:3], v31, v[2:3]
; %bb.1044:                             ;   in Loop: Header=BB0_707 Depth=2
	s_andn2_saveexec_b64 s[16:17], s[16:17]
; %bb.1045:                             ;   in Loop: Header=BB0_707 Depth=2
	v_bfe_u32 v29, v2, 23, 1
; %bb.1046:                             ;   in Loop: Header=BB0_707 Depth=2
	s_or_b64 exec, exec, s[16:17]
	v_lshrrev_b64 v[2:3], 21, v[2:3]
	v_cmp_gt_i32_e32 vcc, 32, v29
	v_cndmask_b32_e32 v3, 0, v3, vcc
	v_cndmask_b32_e32 v2, 3, v2, vcc
	v_cmp_eq_u64_e64 s[16:17], 0, v[2:3]
	v_min_i32_e32 v3, 31, v29
	v_cmp_eq_u32_e32 vcc, 0, v29
	v_lshlrev_b32_e32 v3, 2, v3
	v_and_or_b32 v2, v2, 3, v3
	s_and_b64 s[16:17], vcc, s[16:17]
	v_cndmask_b32_e64 v2, v2, 0, s[16:17]
	v_or_b32_e32 v29, v2, v10
.LBB0_1047:                             ;   in Loop: Header=BB0_707 Depth=2
	s_or_b64 exec, exec, s[50:51]
.LBB0_1048:                             ;   in Loop: Header=BB0_707 Depth=2
	s_or_b64 exec, exec, s[48:49]
                                        ; implicit-def: $vgpr2
.LBB0_1049:                             ;   in Loop: Header=BB0_707 Depth=2
	s_andn2_saveexec_b64 s[16:17], s[46:47]
; %bb.1050:                             ;   in Loop: Header=BB0_707 Depth=2
	v_or_b32_sdwa v2, v2, s68 dst_sel:DWORD dst_unused:UNUSED_PAD src0_sel:BYTE_3 src1_sel:DWORD
	v_cmp_eq_u64_e32 vcc, 0, v[54:55]
	v_cndmask_b32_e32 v29, v2, v29, vcc
; %bb.1051:                             ;   in Loop: Header=BB0_707 Depth=2
	s_or_b64 exec, exec, s[16:17]
	v_lshrrev_b32_e32 v2, 16, v4
	v_cmp_ne_u16_sdwa vcc, v2, v55 src0_sel:BYTE_0 src1_sel:DWORD
	v_mov_b32_e32 v3, 0
	v_mov_b32_e32 v10, 0
	s_and_saveexec_b64 s[16:17], vcc
	s_cbranch_execz .LBB0_1059
; %bb.1052:                             ;   in Loop: Header=BB0_707 Depth=2
	v_cmp_ne_u16_sdwa vcc, v2, s66 src0_sel:BYTE_0 src1_sel:DWORD
	v_bfrev_b32_e32 v10, 1
	s_and_saveexec_b64 s[46:47], vcc
	s_cbranch_execz .LBB0_1058
; %bb.1053:                             ;   in Loop: Header=BB0_707 Depth=2
	v_and_b32_e32 v10, 0x7c0000, v4
	v_bfe_u32 v31, v4, 16, 2
	v_cmp_ne_u32_e32 vcc, s69, v10
                                        ; implicit-def: $vgpr10
	s_and_saveexec_b64 s[48:49], vcc
	s_xor_b64 s[48:49], exec, s[48:49]
	s_cbranch_execz .LBB0_1055
; %bb.1054:                             ;   in Loop: Header=BB0_707 Depth=2
	v_ffbh_u32_e32 v33, v31
	v_min_u32_e32 v33, 32, v33
	v_bfe_u32 v10, v4, 18, 5
	v_subrev_u32_e32 v36, 29, v33
	v_lshlrev_b64 v[36:37], v36, v[2:3]
	v_sub_u32_e32 v2, 30, v33
	v_cmp_eq_u32_e32 vcc, 0, v10
	v_and_b32_e32 v33, 3, v36
	v_cndmask_b32_e32 v2, v10, v2, vcc
	v_cndmask_b32_e32 v10, v31, v33, vcc
	v_lshlrev_b32_e32 v31, 8, v4
	v_lshl_add_u32 v2, v2, 23, v7
	v_and_or_b32 v2, v31, s65, v2
	v_lshl_or_b32 v10, v10, 21, v2
                                        ; implicit-def: $vgpr31
                                        ; implicit-def: $vgpr2
.LBB0_1055:                             ;   in Loop: Header=BB0_707 Depth=2
	s_andn2_saveexec_b64 s[48:49], s[48:49]
; %bb.1056:                             ;   in Loop: Header=BB0_707 Depth=2
	v_cmp_gt_i16_sdwa vcc, sext(v2), v47 src0_sel:BYTE_0 src1_sel:DWORD
	v_cndmask_b32_e32 v2, v24, v25, vcc
	v_cmp_eq_u32_e32 vcc, 0, v31
	v_cndmask_b32_e32 v10, v6, v2, vcc
; %bb.1057:                             ;   in Loop: Header=BB0_707 Depth=2
	s_or_b64 exec, exec, s[48:49]
.LBB0_1058:                             ;   in Loop: Header=BB0_707 Depth=2
	s_or_b64 exec, exec, s[46:47]
.LBB0_1059:                             ;   in Loop: Header=BB0_707 Depth=2
	s_or_b64 exec, exec, s[16:17]
	v_lshrrev_b32_e32 v2, 16, v28
	v_cmp_ne_u16_sdwa vcc, v2, v55 src0_sel:BYTE_0 src1_sel:DWORD
	s_and_saveexec_b64 s[16:17], vcc
	s_cbranch_execz .LBB0_1067
; %bb.1060:                             ;   in Loop: Header=BB0_707 Depth=2
	v_cmp_ne_u16_sdwa vcc, v2, s66 src0_sel:BYTE_0 src1_sel:DWORD
	v_bfrev_b32_e32 v3, 1
	s_and_saveexec_b64 s[46:47], vcc
	s_cbranch_execz .LBB0_1066
; %bb.1061:                             ;   in Loop: Header=BB0_707 Depth=2
	v_and_b32_e32 v3, 0x7c, v27
	v_bfe_u32 v31, v28, 16, 2
	v_cmp_ne_u32_e32 vcc, s64, v3
                                        ; implicit-def: $vgpr3
	s_and_saveexec_b64 s[48:49], vcc
	s_xor_b64 s[48:49], exec, s[48:49]
	s_cbranch_execz .LBB0_1063
; %bb.1062:                             ;   in Loop: Header=BB0_707 Depth=2
	v_ffbh_u32_e32 v3, v31
	v_min_u32_e32 v36, 32, v3
	v_subrev_u32_e32 v3, 29, v36
	v_bfe_u32 v33, v27, 2, 5
	v_lshlrev_b64 v[2:3], v3, v[2:3]
	v_sub_u32_e32 v3, 30, v36
	v_cmp_eq_u32_e32 vcc, 0, v33
	v_cndmask_b32_e32 v3, v33, v3, vcc
	v_and_b32_e32 v2, 3, v2
	v_lshlrev_b32_e32 v27, 24, v27
	v_lshl_add_u32 v3, v3, 23, v7
	v_cndmask_b32_e32 v2, v31, v2, vcc
	v_and_or_b32 v3, v27, s65, v3
	v_lshl_or_b32 v3, v2, 21, v3
                                        ; implicit-def: $vgpr31
                                        ; implicit-def: $vgpr2
.LBB0_1063:                             ;   in Loop: Header=BB0_707 Depth=2
	s_andn2_saveexec_b64 s[48:49], s[48:49]
; %bb.1064:                             ;   in Loop: Header=BB0_707 Depth=2
	v_cmp_gt_i16_sdwa vcc, sext(v2), v47 src0_sel:BYTE_0 src1_sel:DWORD
	v_cndmask_b32_e32 v2, v24, v25, vcc
	v_cmp_eq_u32_e32 vcc, 0, v31
	v_cndmask_b32_e32 v3, v6, v2, vcc
; %bb.1065:                             ;   in Loop: Header=BB0_707 Depth=2
	s_or_b64 exec, exec, s[48:49]
.LBB0_1066:                             ;   in Loop: Header=BB0_707 Depth=2
	s_or_b64 exec, exec, s[46:47]
.LBB0_1067:                             ;   in Loop: Header=BB0_707 Depth=2
	s_or_b64 exec, exec, s[16:17]
	v_add_f32_e32 v2, v10, v3
	v_and_b32_sdwa v10, v2, s66 dst_sel:DWORD dst_unused:UNUSED_PAD src0_sel:BYTE_3 src1_sel:DWORD
	v_and_b32_e32 v36, 0x7f800000, v2
	v_mov_b32_e32 v37, v55
	v_and_b32_e32 v54, 0x7fffff, v2
	v_or_b32_e32 v27, 0x7b, v10
	v_cmp_ne_u64_e32 vcc, s[38:39], v[36:37]
	s_and_saveexec_b64 s[16:17], vcc
	s_xor_b64 s[46:47], exec, s[16:17]
	s_cbranch_execz .LBB0_1077
; %bb.1068:                             ;   in Loop: Header=BB0_707 Depth=2
	v_and_b32_e32 v36, 0x7fffffff, v2
	v_mov_b32_e32 v37, v55
	v_cmp_gt_u64_e32 vcc, s[40:41], v[36:37]
	s_and_saveexec_b64 s[48:49], vcc
	s_cbranch_execz .LBB0_1076
; %bb.1069:                             ;   in Loop: Header=BB0_707 Depth=2
	v_cmp_ne_u32_e32 vcc, 0, v2
	v_mov_b32_e32 v27, 0
	s_and_saveexec_b64 s[50:51], vcc
	s_cbranch_execz .LBB0_1075
; %bb.1070:                             ;   in Loop: Header=BB0_707 Depth=2
	v_bfe_u32 v2, v2, 23, 8
	v_sub_u32_e32 v27, 0x71, v2
	v_cmp_gt_u32_e32 vcc, s67, v2
	v_cndmask_b32_e32 v27, 0, v27, vcc
	v_cmp_eq_u32_e32 vcc, 0, v2
	v_or_b32_e32 v31, 0x800000, v54
	v_cndmask_b32_e32 v27, v27, v49, vcc
	v_add_u32_e32 v3, 0xffffff81, v2
	v_cndmask_b32_e32 v54, v31, v54, vcc
	v_add_u32_e32 v2, 21, v27
	v_cndmask_b32_e32 v33, v3, v48, vcc
	v_lshlrev_b64 v[2:3], v2, -1
	v_add_u32_e32 v31, 20, v27
	v_lshrrev_b64 v[40:41], v27, v[54:55]
	v_not_b32_e32 v3, v3
	v_not_b32_e32 v2, v2
	v_lshlrev_b64 v[36:37], v31, 1
	v_lshrrev_b32_e32 v31, 23, v40
	v_and_b32_e32 v3, 0, v3
	v_and_b32_e32 v2, v54, v2
	v_add3_u32 v33, v27, v33, v31
	v_bfe_u32 v27, v40, 21, 1
	v_add_u32_e32 v27, -1, v27
	v_cmp_eq_u64_e32 vcc, v[2:3], v[36:37]
	v_cndmask_b32_e32 v2, 0, v27, vcc
	v_add_u32_e32 v2, v2, v40
	v_and_b32_e32 v2, 0x1fffff, v2
	v_add_co_u32_e32 v2, vcc, v2, v40
	v_add_u32_e32 v31, 14, v33
	v_addc_co_u32_e32 v3, vcc, 0, v41, vcc
	v_cmp_ne_u32_e32 vcc, 0, v31
                                        ; implicit-def: $vgpr27
	s_and_saveexec_b64 s[16:17], vcc
	s_xor_b64 s[16:17], exec, s[16:17]
; %bb.1071:                             ;   in Loop: Header=BB0_707 Depth=2
	v_add_u32_e32 v27, 15, v33
	v_cmp_lt_u64_e32 vcc, s[42:43], v[2:3]
	v_cndmask_b32_e32 v27, v31, v27, vcc
	v_cndmask_b32_e64 v31, 0, 1, vcc
	v_lshrrev_b64 v[2:3], v31, v[2:3]
; %bb.1072:                             ;   in Loop: Header=BB0_707 Depth=2
	s_andn2_saveexec_b64 s[16:17], s[16:17]
; %bb.1073:                             ;   in Loop: Header=BB0_707 Depth=2
	v_bfe_u32 v27, v2, 23, 1
; %bb.1074:                             ;   in Loop: Header=BB0_707 Depth=2
	s_or_b64 exec, exec, s[16:17]
	v_lshrrev_b64 v[2:3], 21, v[2:3]
	v_cmp_gt_i32_e32 vcc, 32, v27
	v_cndmask_b32_e32 v3, 0, v3, vcc
	v_cndmask_b32_e32 v2, 3, v2, vcc
	v_cmp_eq_u64_e64 s[16:17], 0, v[2:3]
	v_min_i32_e32 v3, 31, v27
	v_lshlrev_b32_e32 v3, 2, v3
	v_cmp_eq_u32_e32 vcc, 0, v27
	v_and_b32_e32 v3, 0xfc, v3
	v_and_or_b32 v2, v2, 3, v3
	s_and_b64 s[16:17], vcc, s[16:17]
	v_cndmask_b32_e64 v2, v2, 0, s[16:17]
	v_or_b32_e32 v27, v2, v10
.LBB0_1075:                             ;   in Loop: Header=BB0_707 Depth=2
	s_or_b64 exec, exec, s[50:51]
.LBB0_1076:                             ;   in Loop: Header=BB0_707 Depth=2
	s_or_b64 exec, exec, s[48:49]
                                        ; implicit-def: $vgpr2
.LBB0_1077:                             ;   in Loop: Header=BB0_707 Depth=2
	s_andn2_saveexec_b64 s[16:17], s[46:47]
; %bb.1078:                             ;   in Loop: Header=BB0_707 Depth=2
	v_or_b32_sdwa v2, v2, s68 dst_sel:DWORD dst_unused:UNUSED_PAD src0_sel:BYTE_3 src1_sel:DWORD
	v_cmp_eq_u64_e32 vcc, 0, v[54:55]
	v_cndmask_b32_e32 v27, v2, v27, vcc
; %bb.1079:                             ;   in Loop: Header=BB0_707 Depth=2
	s_or_b64 exec, exec, s[16:17]
	v_mov_b32_e32 v2, v55
	v_mov_b32_e32 v3, v4
	v_cmp_lt_u64_e32 vcc, s[36:37], v[2:3]
	v_mov_b32_e32 v31, 0
	v_mov_b32_e32 v33, 0
	s_and_saveexec_b64 s[16:17], vcc
	s_cbranch_execz .LBB0_1087
; %bb.1080:                             ;   in Loop: Header=BB0_707 Depth=2
	v_lshrrev_b32_e32 v10, 24, v4
	v_cmp_ne_u32_e32 vcc, s66, v10
	v_bfrev_b32_e32 v33, 1
	s_and_saveexec_b64 s[46:47], vcc
	s_cbranch_execz .LBB0_1086
; %bb.1081:                             ;   in Loop: Header=BB0_707 Depth=2
	v_and_b32_e32 v33, 0x7c000000, v4
	v_bfe_u32 v36, v4, 24, 2
	v_cmp_ne_u32_e32 vcc, s70, v33
                                        ; implicit-def: $vgpr33
	s_and_saveexec_b64 s[48:49], vcc
	s_xor_b64 s[48:49], exec, s[48:49]
	s_cbranch_execz .LBB0_1083
; %bb.1082:                             ;   in Loop: Header=BB0_707 Depth=2
	v_ffbh_u32_e32 v2, v36
	v_min_u32_e32 v37, 32, v2
	v_subrev_u32_e32 v2, 29, v37
	v_bfe_u32 v33, v4, 26, 5
	v_lshlrev_b64 v[2:3], v2, v[10:11]
	v_sub_u32_e32 v3, 30, v37
	v_cmp_eq_u32_e32 vcc, 0, v33
	v_cndmask_b32_e32 v3, v33, v3, vcc
	v_and_b32_e32 v2, 3, v2
	v_lshl_add_u32 v3, v3, 23, v7
	v_cndmask_b32_e32 v2, v36, v2, vcc
	v_and_or_b32 v3, v4, s65, v3
	v_lshl_or_b32 v33, v2, 21, v3
                                        ; implicit-def: $vgpr36
                                        ; implicit-def: $vgpr2_vgpr3
.LBB0_1083:                             ;   in Loop: Header=BB0_707 Depth=2
	s_andn2_saveexec_b64 s[48:49], s[48:49]
; %bb.1084:                             ;   in Loop: Header=BB0_707 Depth=2
	v_cmp_lt_i64_e32 vcc, -1, v[2:3]
	v_cndmask_b32_e32 v2, v24, v25, vcc
	v_cmp_eq_u32_e32 vcc, 0, v36
	v_cndmask_b32_e32 v33, v6, v2, vcc
; %bb.1085:                             ;   in Loop: Header=BB0_707 Depth=2
	s_or_b64 exec, exec, s[48:49]
.LBB0_1086:                             ;   in Loop: Header=BB0_707 Depth=2
	s_or_b64 exec, exec, s[46:47]
.LBB0_1087:                             ;   in Loop: Header=BB0_707 Depth=2
	s_or_b64 exec, exec, s[16:17]
	v_cmp_lt_u32_e32 vcc, s37, v28
	s_and_saveexec_b64 s[16:17], vcc
	s_cbranch_execz .LBB0_1095
; %bb.1088:                             ;   in Loop: Header=BB0_707 Depth=2
	v_lshrrev_b32_e32 v2, 24, v28
	v_cmp_ne_u32_e32 vcc, s66, v2
	v_bfrev_b32_e32 v31, 1
	s_and_saveexec_b64 s[46:47], vcc
	s_cbranch_execz .LBB0_1094
; %bb.1089:                             ;   in Loop: Header=BB0_707 Depth=2
	v_and_b32_e32 v4, 0x7c000000, v28
	v_bfe_u32 v3, v28, 24, 2
	v_cmp_ne_u32_e32 vcc, s70, v4
                                        ; implicit-def: $vgpr31
	s_and_saveexec_b64 s[48:49], vcc
	s_xor_b64 s[48:49], exec, s[48:49]
	s_cbranch_execz .LBB0_1091
; %bb.1090:                             ;   in Loop: Header=BB0_707 Depth=2
	v_ffbh_u32_e32 v10, v3
	v_min_u32_e32 v10, 32, v10
	v_bfe_u32 v4, v28, 26, 5
	v_subrev_u32_e32 v28, 29, v10
	v_lshlrev_b64 v[36:37], v28, v[2:3]
	v_sub_u32_e32 v2, 30, v10
	v_cmp_eq_u32_e32 vcc, 0, v4
	v_cndmask_b32_e32 v2, v4, v2, vcc
	v_and_b32_e32 v10, 3, v36
	v_lshl_add_u32 v2, v2, 23, v7
	v_cndmask_b32_e32 v3, v3, v10, vcc
	v_and_or_b32 v2, v23, s65, v2
	v_lshl_or_b32 v31, v3, 21, v2
                                        ; implicit-def: $vgpr3
                                        ; implicit-def: $vgpr23
.LBB0_1091:                             ;   in Loop: Header=BB0_707 Depth=2
	s_andn2_saveexec_b64 s[48:49], s[48:49]
; %bb.1092:                             ;   in Loop: Header=BB0_707 Depth=2
	v_cmp_lt_i32_e32 vcc, -1, v23
	v_cndmask_b32_e32 v2, v24, v25, vcc
	v_cmp_eq_u32_e32 vcc, 0, v3
	v_cndmask_b32_e32 v31, v6, v2, vcc
; %bb.1093:                             ;   in Loop: Header=BB0_707 Depth=2
	s_or_b64 exec, exec, s[48:49]
.LBB0_1094:                             ;   in Loop: Header=BB0_707 Depth=2
	s_or_b64 exec, exec, s[46:47]
.LBB0_1095:                             ;   in Loop: Header=BB0_707 Depth=2
	s_or_b64 exec, exec, s[16:17]
	v_add_f32_e32 v3, v33, v31
	v_and_b32_sdwa v4, v3, s66 dst_sel:DWORD dst_unused:UNUSED_PAD src0_sel:BYTE_3 src1_sel:DWORD
	v_and_b32_e32 v36, 0x7f800000, v3
	v_mov_b32_e32 v37, v55
	v_and_b32_e32 v54, 0x7fffff, v3
	v_or_b32_e32 v2, 0x7b, v4
	v_cmp_ne_u64_e32 vcc, s[38:39], v[36:37]
	s_and_saveexec_b64 s[16:17], vcc
	s_xor_b64 s[46:47], exec, s[16:17]
	s_cbranch_execz .LBB0_1105
; %bb.1096:                             ;   in Loop: Header=BB0_707 Depth=2
	v_and_b32_e32 v36, 0x7fffffff, v3
	v_mov_b32_e32 v37, v55
	v_cmp_gt_u64_e32 vcc, s[40:41], v[36:37]
	s_and_saveexec_b64 s[48:49], vcc
	s_cbranch_execz .LBB0_1104
; %bb.1097:                             ;   in Loop: Header=BB0_707 Depth=2
	v_cmp_ne_u32_e32 vcc, 0, v3
	v_mov_b32_e32 v2, 0
	s_and_saveexec_b64 s[50:51], vcc
	s_cbranch_execz .LBB0_1103
; %bb.1098:                             ;   in Loop: Header=BB0_707 Depth=2
	v_bfe_u32 v2, v3, 23, 8
	v_sub_u32_e32 v10, 0x71, v2
	v_cmp_gt_u32_e32 vcc, s67, v2
	v_cndmask_b32_e32 v10, 0, v10, vcc
	v_cmp_eq_u32_e32 vcc, 0, v2
	v_or_b32_e32 v23, 0x800000, v54
	v_cndmask_b32_e32 v10, v10, v49, vcc
	v_add_u32_e32 v3, 0xffffff81, v2
	v_cndmask_b32_e32 v54, v23, v54, vcc
	v_add_u32_e32 v2, 21, v10
	v_cndmask_b32_e32 v28, v3, v48, vcc
	v_lshlrev_b64 v[2:3], v2, -1
	v_add_u32_e32 v23, 20, v10
	v_lshrrev_b64 v[40:41], v10, v[54:55]
	v_not_b32_e32 v3, v3
	v_not_b32_e32 v2, v2
	v_lshlrev_b64 v[36:37], v23, 1
	v_lshrrev_b32_e32 v23, 23, v40
	v_and_b32_e32 v3, 0, v3
	v_and_b32_e32 v2, v54, v2
	v_add3_u32 v28, v10, v28, v23
	v_bfe_u32 v10, v40, 21, 1
	v_add_u32_e32 v10, -1, v10
	v_cmp_eq_u64_e32 vcc, v[2:3], v[36:37]
	v_cndmask_b32_e32 v2, 0, v10, vcc
	v_add_u32_e32 v2, v2, v40
	v_and_b32_e32 v2, 0x1fffff, v2
	v_add_co_u32_e32 v2, vcc, v2, v40
	v_add_u32_e32 v23, 14, v28
	v_addc_co_u32_e32 v3, vcc, 0, v41, vcc
	v_cmp_ne_u32_e32 vcc, 0, v23
                                        ; implicit-def: $vgpr10
	s_and_saveexec_b64 s[16:17], vcc
	s_xor_b64 s[16:17], exec, s[16:17]
; %bb.1099:                             ;   in Loop: Header=BB0_707 Depth=2
	v_add_u32_e32 v10, 15, v28
	v_cmp_lt_u64_e32 vcc, s[42:43], v[2:3]
	v_cndmask_b32_e32 v10, v23, v10, vcc
	v_cndmask_b32_e64 v23, 0, 1, vcc
	v_lshrrev_b64 v[2:3], v23, v[2:3]
; %bb.1100:                             ;   in Loop: Header=BB0_707 Depth=2
	s_andn2_saveexec_b64 s[16:17], s[16:17]
; %bb.1101:                             ;   in Loop: Header=BB0_707 Depth=2
	v_bfe_u32 v10, v2, 23, 1
; %bb.1102:                             ;   in Loop: Header=BB0_707 Depth=2
	s_or_b64 exec, exec, s[16:17]
	v_lshrrev_b64 v[2:3], 21, v[2:3]
	v_cmp_gt_i32_e32 vcc, 32, v10
	v_cndmask_b32_e32 v3, 0, v3, vcc
	v_cndmask_b32_e32 v2, 3, v2, vcc
	v_cmp_eq_u64_e64 s[16:17], 0, v[2:3]
	v_min_i32_e32 v3, 31, v10
	v_lshlrev_b32_e32 v3, 2, v3
	v_cmp_eq_u32_e32 vcc, 0, v10
	v_and_b32_e32 v3, 0xfc, v3
	v_and_or_b32 v2, v2, 3, v3
	s_and_b64 s[16:17], vcc, s[16:17]
	v_cndmask_b32_e64 v2, v2, 0, s[16:17]
	v_or_b32_e32 v2, v2, v4
.LBB0_1103:                             ;   in Loop: Header=BB0_707 Depth=2
	s_or_b64 exec, exec, s[50:51]
.LBB0_1104:                             ;   in Loop: Header=BB0_707 Depth=2
	s_or_b64 exec, exec, s[48:49]
                                        ; implicit-def: $vgpr3
.LBB0_1105:                             ;   in Loop: Header=BB0_707 Depth=2
	s_andn2_saveexec_b64 s[16:17], s[46:47]
; %bb.1106:                             ;   in Loop: Header=BB0_707 Depth=2
	v_or_b32_sdwa v3, v3, s68 dst_sel:DWORD dst_unused:UNUSED_PAD src0_sel:BYTE_3 src1_sel:DWORD
	v_cmp_eq_u64_e32 vcc, 0, v[54:55]
	v_cndmask_b32_e32 v2, v3, v2, vcc
; %bb.1107:                             ;   in Loop: Header=BB0_707 Depth=2
	s_or_b64 exec, exec, s[16:17]
	v_lshlrev_b32_e32 v3, 8, v29
	v_lshlrev_b32_e32 v2, 24, v2
	;; [unrolled: 1-line block ×3, first 2 shown]
	v_perm_b32 v3, v3, v5, s71
	v_cmp_lt_u32_e32 vcc, 7, v46
	v_or3_b32 v3, v2, v3, v4
	v_cndmask_b32_e64 v2, 0, 1, vcc
	;;#ASMSTART
	;;#ASMEND
	v_cmp_ne_u32_e64 s[16:17], 0, v2
	s_cmp_lg_u64 s[16:17], exec
	s_mov_b64 s[16:17], -1
	s_cbranch_scc0 .LBB0_1117
; %bb.1108:                             ;   in Loop: Header=BB0_707 Depth=2
	v_cmp_ne_u32_e64 s[16:17], 1, v46
	flat_store_byte v[0:1], v21
	s_and_saveexec_b64 s[46:47], s[16:17]
	s_cbranch_execnz .LBB0_1119
; %bb.1109:                             ;   in Loop: Header=BB0_707 Depth=2
	s_or_b64 exec, exec, s[46:47]
	v_cmp_lt_u32_e64 s[16:17], 2, v46
	s_and_saveexec_b64 s[46:47], s[16:17]
	s_cbranch_execnz .LBB0_1120
.LBB0_1110:                             ;   in Loop: Header=BB0_707 Depth=2
	s_or_b64 exec, exec, s[46:47]
	v_cmp_lt_u32_e64 s[16:17], 3, v46
	s_and_saveexec_b64 s[46:47], s[16:17]
	s_cbranch_execnz .LBB0_1121
.LBB0_1111:                             ;   in Loop: Header=BB0_707 Depth=2
	s_or_b64 exec, exec, s[46:47]
	v_cmp_lt_u32_e64 s[16:17], 4, v46
	s_and_saveexec_b64 s[46:47], s[16:17]
	s_cbranch_execnz .LBB0_1122
.LBB0_1112:                             ;   in Loop: Header=BB0_707 Depth=2
	s_or_b64 exec, exec, s[46:47]
	v_cmp_lt_u32_e64 s[16:17], 5, v46
	s_and_saveexec_b64 s[46:47], s[16:17]
	s_cbranch_execnz .LBB0_1123
.LBB0_1113:                             ;   in Loop: Header=BB0_707 Depth=2
	s_or_b64 exec, exec, s[46:47]
	v_cmp_lt_u32_e64 s[16:17], 6, v46
	s_and_saveexec_b64 s[46:47], s[16:17]
	s_cbranch_execnz .LBB0_1124
.LBB0_1114:                             ;   in Loop: Header=BB0_707 Depth=2
	s_or_b64 exec, exec, s[46:47]
	s_and_saveexec_b64 s[16:17], vcc
	s_cbranch_execz .LBB0_1116
.LBB0_1115:                             ;   in Loop: Header=BB0_707 Depth=2
	v_lshrrev_b32_e32 v2, 24, v3
	flat_store_byte v[0:1], v2 offset:7
.LBB0_1116:                             ;   in Loop: Header=BB0_707 Depth=2
	s_or_b64 exec, exec, s[16:17]
	s_mov_b64 s[16:17], 0
.LBB0_1117:                             ;   in Loop: Header=BB0_707 Depth=2
	s_and_b64 vcc, exec, s[16:17]
	s_cbranch_vccz .LBB0_706
; %bb.1118:                             ;   in Loop: Header=BB0_707 Depth=2
	v_perm_b32 v4, v22, v11, s72
	v_lshlrev_b32_e32 v2, 8, v32
	v_perm_b32 v4, v4, v21, s75
	v_and_or_b32 v2, v2, s73, v4
	global_store_dwordx2 v[0:1], v[2:3], off
	s_branch .LBB0_706
.LBB0_1119:                             ;   in Loop: Header=BB0_707 Depth=2
	flat_store_byte v[0:1], v32 offset:1
	s_or_b64 exec, exec, s[46:47]
	v_cmp_lt_u32_e64 s[16:17], 2, v46
	s_and_saveexec_b64 s[46:47], s[16:17]
	s_cbranch_execz .LBB0_1110
.LBB0_1120:                             ;   in Loop: Header=BB0_707 Depth=2
	flat_store_byte v[0:1], v11 offset:2
	s_or_b64 exec, exec, s[46:47]
	v_cmp_lt_u32_e64 s[16:17], 3, v46
	s_and_saveexec_b64 s[46:47], s[16:17]
	s_cbranch_execz .LBB0_1111
.LBB0_1121:                             ;   in Loop: Header=BB0_707 Depth=2
	flat_store_byte v[0:1], v22 offset:3
	s_or_b64 exec, exec, s[46:47]
	v_cmp_lt_u32_e64 s[16:17], 4, v46
	s_and_saveexec_b64 s[46:47], s[16:17]
	s_cbranch_execz .LBB0_1112
.LBB0_1122:                             ;   in Loop: Header=BB0_707 Depth=2
	flat_store_byte v[0:1], v5 offset:4
	s_or_b64 exec, exec, s[46:47]
	v_cmp_lt_u32_e64 s[16:17], 5, v46
	s_and_saveexec_b64 s[46:47], s[16:17]
	s_cbranch_execz .LBB0_1113
.LBB0_1123:                             ;   in Loop: Header=BB0_707 Depth=2
	flat_store_byte v[0:1], v29 offset:5
	s_or_b64 exec, exec, s[46:47]
	v_cmp_lt_u32_e64 s[16:17], 6, v46
	s_and_saveexec_b64 s[46:47], s[16:17]
	s_cbranch_execz .LBB0_1114
.LBB0_1124:                             ;   in Loop: Header=BB0_707 Depth=2
	flat_store_byte v[0:1], v27 offset:6
	s_or_b64 exec, exec, s[46:47]
	s_and_saveexec_b64 s[16:17], vcc
	s_cbranch_execnz .LBB0_1115
	s_branch .LBB0_1116
.LBB0_1125:                             ;   in Loop: Header=BB0_29 Depth=1
	s_or_b64 exec, exec, s[44:45]
	v_accvgpr_read_b32 v51, a11
	v_accvgpr_read_b32 v8, a30
	v_accvgpr_read_b32 v44, a48
	v_accvgpr_read_b32 v50, a10
	v_accvgpr_read_b32 v9, a31
	v_accvgpr_read_b32 v45, a49
.LBB0_1126:                             ;   in Loop: Header=BB0_29 Depth=1
	s_or_b64 exec, exec, s[18:19]
	v_accvgpr_read_b32 v4, a4
	v_accvgpr_read_b32 v5, a5
	s_and_saveexec_b64 s[16:17], s[10:11]
	s_cbranch_execz .LBB0_1145
; %bb.1127:                             ;   in Loop: Header=BB0_29 Depth=1
	s_and_saveexec_b64 s[18:19], s[28:29]
	s_xor_b64 s[18:19], exec, s[18:19]
	s_cbranch_execz .LBB0_1142
; %bb.1128:                             ;   in Loop: Header=BB0_29 Depth=1
	s_and_saveexec_b64 s[44:45], s[12:13]
	s_cbranch_execz .LBB0_1141
; %bb.1129:                             ;   in Loop: Header=BB0_29 Depth=1
	s_mov_b64 s[48:49], exec
	v_mbcnt_lo_u32_b32 v0, s48, 0
	v_mbcnt_hi_u32_b32 v0, s49, v0
	v_cmp_eq_u32_e32 vcc, 0, v0
	s_waitcnt vmcnt(0) lgkmcnt(0)
	buffer_wbinvl1_vol
	s_and_saveexec_b64 s[46:47], vcc
	s_cbranch_execz .LBB0_1131
; %bb.1130:                             ;   in Loop: Header=BB0_29 Depth=1
	s_bcnt1_i32_b64 vcc_lo, s[48:49]
	v_mov_b32_e32 v54, vcc_lo
	ds_add_u64 v0, v[54:55]
	s_trap 2
.LBB0_1131:                             ;   in Loop: Header=BB0_29 Depth=1
	s_or_b64 exec, exec, s[46:47]
	s_trap 2
	ds_read_b64 v[0:1], v0
	v_accvgpr_read_b32 v2, a36
	v_add_co_u32_e32 v42, vcc, v42, v2
	v_accvgpr_read_b32 v3, a47
	v_addc_co_u32_e32 v43, vcc, v43, v3, vcc
	s_waitcnt lgkmcnt(0)
	v_cmp_lt_u64_e32 vcc, v[0:1], v[42:43]
	s_and_saveexec_b64 s[46:47], vcc
	s_cbranch_execz .LBB0_1140
; %bb.1132:                             ;   in Loop: Header=BB0_29 Depth=1
	s_mov_b32 s58, 0
	s_mov_b64 s[48:49], 0
                                        ; implicit-def: $sgpr50_sgpr51
                                        ; implicit-def: $sgpr52_sgpr53
	s_branch .LBB0_1134
.LBB0_1133:                             ;   in Loop: Header=BB0_1134 Depth=2
	s_or_b64 exec, exec, s[56:57]
	s_and_b64 vcc, exec, vcc
	s_or_b64 s[48:49], vcc, s[48:49]
	s_andn2_b64 vcc, s[50:51], exec
	s_and_b64 s[50:51], s[52:53], exec
	s_or_b64 s[50:51], vcc, s[50:51]
	s_andn2_b64 exec, exec, s[48:49]
	s_cbranch_execz .LBB0_1138
.LBB0_1134:                             ;   Parent Loop BB0_29 Depth=1
                                        ; =>  This Inner Loop Header: Depth=2
	s_add_i32 s58, s58, 1
	s_cmpk_lg_i32 s58, 0x2710
	s_cselect_b64 s[54:55], -1, 0
	s_and_b64 vcc, exec, s[54:55]
                                        ; implicit-def: $sgpr56_sgpr57
	s_cbranch_vccnz .LBB0_1136
; %bb.1135:                             ;   in Loop: Header=BB0_1134 Depth=2
	s_trap 2
	ds_read_b64 v[0:1], v0
	s_andn2_b64 s[54:55], s[54:55], exec
	s_mov_b32 s58, 0
	s_mov_b64 s[56:57], -1
	s_waitcnt lgkmcnt(0)
	flat_load_dword v0, v[0:1] glc
	s_waitcnt vmcnt(0) lgkmcnt(0)
	buffer_invl2
	buffer_wbinvl1_vol
	v_cmp_eq_u32_e32 vcc, 0, v0
	s_and_b64 vcc, vcc, exec
	s_or_b64 s[54:55], s[54:55], vcc
.LBB0_1136:                             ;   in Loop: Header=BB0_1134 Depth=2
	s_andn2_b64 s[52:53], s[52:53], exec
	s_and_b64 s[56:57], s[56:57], exec
	s_mov_b64 vcc, -1
	s_or_b64 s[52:53], s[52:53], s[56:57]
	s_and_saveexec_b64 s[56:57], s[54:55]
	s_cbranch_execz .LBB0_1133
; %bb.1137:                             ;   in Loop: Header=BB0_1134 Depth=2
	s_sleep 1
	s_trap 2
	ds_read_b64 v[0:1], v0
	s_andn2_b64 s[52:53], s[52:53], exec
	s_waitcnt lgkmcnt(0)
	v_cmp_ge_u64_e32 vcc, v[0:1], v[42:43]
	s_orn2_b64 vcc, vcc, exec
	s_branch .LBB0_1133
.LBB0_1138:                             ;   in Loop: Header=BB0_29 Depth=1
	s_or_b64 exec, exec, s[48:49]
	s_and_saveexec_b64 vcc, s[50:51]
	s_xor_b64 vcc, exec, vcc
	s_cbranch_execz .LBB0_1140
; %bb.1139:                             ;   in Loop: Header=BB0_29 Depth=1
	v_mov_b32_e32 v0, 1
	ds_write_b32 v0, v0
	s_trap 2
.LBB0_1140:                             ;   in Loop: Header=BB0_29 Depth=1
	s_or_b64 exec, exec, s[46:47]
	;;#ASMSTART
	s_wakeup
	;;#ASMEND
.LBB0_1141:                             ;   in Loop: Header=BB0_29 Depth=1
	s_or_b64 exec, exec, s[44:45]
.LBB0_1142:                             ;   in Loop: Header=BB0_29 Depth=1
	s_andn2_saveexec_b64 s[18:19], s[18:19]
	s_cbranch_execz .LBB0_1144
; %bb.1143:                             ;   in Loop: Header=BB0_29 Depth=1
	s_waitcnt vmcnt(0) lgkmcnt(0)
	buffer_wbinvl1_vol
	s_barrier
.LBB0_1144:                             ;   in Loop: Header=BB0_29 Depth=1
	s_or_b64 exec, exec, s[18:19]
.LBB0_1145:                             ;   in Loop: Header=BB0_29 Depth=1
	s_or_b64 exec, exec, s[16:17]
	s_and_saveexec_b64 s[16:17], s[14:15]
	s_cbranch_execz .LBB0_28
; %bb.1146:                             ;   in Loop: Header=BB0_29 Depth=1
	v_accvgpr_read_b32 v0, a26
	v_accvgpr_read_b32 v1, a27
	v_add_co_u32_e32 v0, vcc, 1, v0
	v_addc_co_u32_e32 v1, vcc, 0, v1, vcc
	v_accvgpr_write_b32 a27, v1
	s_waitcnt vmcnt(0) lgkmcnt(0)
	v_accvgpr_read_b32 v2, a28
	v_accvgpr_write_b32 a26, v0
	v_accvgpr_read_b32 v3, a29
	flat_store_dwordx2 v[2:3], v[0:1]
	s_branch .LBB0_28
.LBB0_1147:
	s_or_b64 exec, exec, s[26:27]
	v_accvgpr_read_b32 v23, a15
	v_accvgpr_read_b32 v25, a17
	v_accvgpr_read_b32 v31, a0
	v_accvgpr_read_b32 v9, a1
	v_accvgpr_read_b32 v22, a14
	v_accvgpr_read_b32 v24, a16
.LBB0_1148:
	s_or_b64 exec, exec, s[24:25]
; %bb.1149:
	s_and_saveexec_b64 s[6:7], s[22:23]
	s_cbranch_execnz .LBB0_1152
; %bb.1150:
	s_or_b64 exec, exec, s[6:7]
	s_and_saveexec_b64 s[6:7], s[4:5]
	s_cbranch_execnz .LBB0_1153
.LBB0_1151:
	s_or_b64 exec, exec, s[6:7]
	v_cmp_ne_u32_e32 vcc, 64, v20
	s_and_saveexec_b64 s[4:5], vcc
	s_cbranch_execnz .LBB0_1154
	s_branch .LBB0_1171
.LBB0_1152:
	s_waitcnt vmcnt(0) lgkmcnt(0)
	flat_store_dwordx2 v[24:25], a[26:27] offset:104
	s_or_b64 exec, exec, s[6:7]
	s_and_saveexec_b64 s[6:7], s[4:5]
	s_cbranch_execz .LBB0_1151
.LBB0_1153:
	s_waitcnt vmcnt(0) lgkmcnt(0)
	flat_store_dwordx2 v[22:23], a[22:23] offset:104
	s_or_b64 exec, exec, s[6:7]
	v_cmp_ne_u32_e32 vcc, 64, v20
	s_and_saveexec_b64 s[4:5], vcc
	s_cbranch_execz .LBB0_1171
.LBB0_1154:
	s_waitcnt vmcnt(0)
	v_cmp_ne_u32_sdwa s[6:7], v9, v20 src0_sel:WORD_0 src1_sel:DWORD
	s_and_saveexec_b64 s[8:9], s[6:7]
	s_xor_b64 s[6:7], exec, s[8:9]
	s_cbranch_execz .LBB0_1169
; %bb.1155:
	v_and_b32_e32 v0, 63, v31
	v_cmp_eq_u32_e32 vcc, 0, v0
	s_and_saveexec_b64 s[8:9], vcc
	s_cbranch_execz .LBB0_1168
; %bb.1156:
	s_mov_b64 s[12:13], exec
	v_mbcnt_lo_u32_b32 v0, s12, 0
	v_mbcnt_hi_u32_b32 v0, s13, v0
	v_cmp_eq_u32_e32 vcc, 0, v0
	s_waitcnt lgkmcnt(0)
	buffer_wbinvl1_vol
	s_and_saveexec_b64 s[10:11], vcc
	s_cbranch_execz .LBB0_1158
; %bb.1157:
	s_bcnt1_i32_b64 s12, s[12:13]
	v_mov_b32_e32 v0, s12
	v_mov_b32_e32 v1, 0
	ds_add_u64 v0, v[0:1]
	s_trap 2
.LBB0_1158:
	s_or_b64 exec, exec, s[10:11]
	v_ashrrev_i32_e32 v0, 31, v20
	v_lshrrev_b32_e32 v0, 26, v0
	v_add_u32_e32 v0, v20, v0
	v_ashrrev_i32_e32 v0, 6, v0
	s_trap 2
	ds_read_b64 v[2:3], v0
	v_ashrrev_i32_e32 v1, 31, v0
	v_add_co_u32_e32 v0, vcc, v42, v0
	v_addc_co_u32_e32 v1, vcc, v43, v1, vcc
	s_waitcnt lgkmcnt(0)
	v_cmp_lt_u64_e32 vcc, v[2:3], v[0:1]
	s_and_saveexec_b64 s[10:11], vcc
	s_cbranch_execz .LBB0_1167
; %bb.1159:
	s_mov_b32 s24, 0
	s_mov_b64 s[12:13], 0
                                        ; implicit-def: $sgpr14_sgpr15
                                        ; implicit-def: $sgpr16_sgpr17
	s_branch .LBB0_1161
.LBB0_1160:                             ;   in Loop: Header=BB0_1161 Depth=1
	s_or_b64 exec, exec, s[22:23]
	s_and_b64 s[18:19], exec, s[20:21]
	s_or_b64 s[12:13], s[18:19], s[12:13]
	s_andn2_b64 s[14:15], s[14:15], exec
	s_and_b64 s[18:19], s[16:17], exec
	s_or_b64 s[14:15], s[14:15], s[18:19]
	s_andn2_b64 exec, exec, s[12:13]
	s_cbranch_execz .LBB0_1165
.LBB0_1161:                             ; =>This Inner Loop Header: Depth=1
	s_add_i32 s24, s24, 1
	s_cmpk_lg_i32 s24, 0x2710
	s_cselect_b64 s[18:19], -1, 0
	s_and_b64 vcc, exec, s[18:19]
                                        ; implicit-def: $sgpr22_sgpr23
	s_cbranch_vccnz .LBB0_1163
; %bb.1162:                             ;   in Loop: Header=BB0_1161 Depth=1
	s_trap 2
	ds_read_b64 v[2:3], v0
	s_andn2_b64 s[18:19], s[18:19], exec
	s_mov_b32 s24, 0
	s_mov_b64 s[22:23], -1
	s_waitcnt lgkmcnt(0)
	flat_load_dword v2, v[2:3] glc
	s_waitcnt vmcnt(0) lgkmcnt(0)
	buffer_invl2
	buffer_wbinvl1_vol
	v_cmp_eq_u32_e32 vcc, 0, v2
	s_and_b64 s[20:21], vcc, exec
	s_or_b64 s[18:19], s[18:19], s[20:21]
.LBB0_1163:                             ;   in Loop: Header=BB0_1161 Depth=1
	s_andn2_b64 s[16:17], s[16:17], exec
	s_and_b64 s[22:23], s[22:23], exec
	s_mov_b64 s[20:21], -1
	s_or_b64 s[16:17], s[16:17], s[22:23]
	s_and_saveexec_b64 s[22:23], s[18:19]
	s_cbranch_execz .LBB0_1160
; %bb.1164:                             ;   in Loop: Header=BB0_1161 Depth=1
	s_sleep 1
	s_trap 2
	ds_read_b64 v[2:3], v0
	s_andn2_b64 s[16:17], s[16:17], exec
	s_waitcnt lgkmcnt(0)
	v_cmp_ge_u64_e32 vcc, v[2:3], v[0:1]
	s_orn2_b64 s[20:21], vcc, exec
	s_branch .LBB0_1160
.LBB0_1165:
	s_or_b64 exec, exec, s[12:13]
	s_and_saveexec_b64 s[12:13], s[14:15]
	s_xor_b64 s[12:13], exec, s[12:13]
	s_cbranch_execz .LBB0_1167
; %bb.1166:
	v_mov_b32_e32 v0, 1
	ds_write_b32 v0, v0
	s_trap 2
.LBB0_1167:
	s_or_b64 exec, exec, s[10:11]
	;;#ASMSTART
	s_wakeup
	;;#ASMEND
.LBB0_1168:
	s_or_b64 exec, exec, s[8:9]
.LBB0_1169:
	s_andn2_saveexec_b64 s[6:7], s[6:7]
	s_cbranch_execz .LBB0_1171
; %bb.1170:
	s_waitcnt lgkmcnt(0)
	buffer_wbinvl1_vol
	s_barrier
.LBB0_1171:
	s_or_b64 exec, exec, s[4:5]
	buffer_load_dword a55, off, s[0:3], s32 ; 4-byte Folded Reload
	buffer_load_dword a54, off, s[0:3], s32 offset:4 ; 4-byte Folded Reload
	buffer_load_dword a52, off, s[0:3], s32 offset:8 ; 4-byte Folded Reload
	;; [unrolled: 1-line block ×37, first 2 shown]
	v_readlane_b32 s30, v63, 44
	v_readlane_b32 s31, v63, 45
	v_readlane_b32 s77, v63, 43
	v_readlane_b32 s76, v63, 42
	v_readlane_b32 s75, v63, 41
	v_readlane_b32 s74, v63, 40
	v_readlane_b32 s73, v63, 39
	v_readlane_b32 s72, v63, 38
	v_readlane_b32 s71, v63, 37
	v_readlane_b32 s70, v63, 36
	v_readlane_b32 s69, v63, 35
	v_readlane_b32 s68, v63, 34
	v_readlane_b32 s67, v63, 33
	v_readlane_b32 s66, v63, 32
	v_readlane_b32 s65, v63, 31
	v_readlane_b32 s64, v63, 30
	v_readlane_b32 s63, v63, 29
	v_readlane_b32 s62, v63, 28
	v_readlane_b32 s61, v63, 27
	v_readlane_b32 s60, v63, 26
	v_readlane_b32 s59, v63, 25
	v_readlane_b32 s58, v63, 24
	v_readlane_b32 s57, v63, 23
	v_readlane_b32 s56, v63, 22
	v_readlane_b32 s55, v63, 21
	v_readlane_b32 s54, v63, 20
	v_readlane_b32 s53, v63, 19
	v_readlane_b32 s52, v63, 18
	v_readlane_b32 s51, v63, 17
	v_readlane_b32 s50, v63, 16
	v_readlane_b32 s49, v63, 15
	v_readlane_b32 s48, v63, 14
	v_readlane_b32 s47, v63, 13
	v_readlane_b32 s46, v63, 12
	v_readlane_b32 s45, v63, 11
	v_readlane_b32 s44, v63, 10
	v_readlane_b32 s43, v63, 9
	v_readlane_b32 s42, v63, 8
	v_readlane_b32 s41, v63, 7
	v_readlane_b32 s40, v63, 6
	v_readlane_b32 s39, v63, 5
	v_readlane_b32 s38, v63, 4
	v_readlane_b32 s37, v63, 3
	v_readlane_b32 s36, v63, 2
	v_readlane_b32 s35, v63, 1
	v_readlane_b32 s34, v63, 0
	s_or_saveexec_b64 s[4:5], -1
	buffer_load_dword v63, off, s[0:3], s32 offset:152 ; 4-byte Folded Reload
	s_mov_b64 exec, s[4:5]
	s_waitcnt vmcnt(0) lgkmcnt(0)
	s_setpc_b64 s[30:31]
.Lfunc_end0:
	.size	_ZN12_GLOBAL__N_17runRingI14__hip_fp8_e5m213FuncPreMulSumIS1_E7ProtoLLLi0ELi1ELi0EEEviiP15ncclDevWorkColl, .Lfunc_end0-_ZN12_GLOBAL__N_17runRingI14__hip_fp8_e5m213FuncPreMulSumIS1_E7ProtoLLLi0ELi1ELi0EEEviiP15ncclDevWorkColl
                                        ; -- End function
	.section	.AMDGPU.csdata,"",@progbits
; Function info:
; codeLenInByte = 36792
; NumSgprs: 82
; NumVgprs: 64
; NumAgprs: 56
; TotalNumVgprs: 120
; ScratchSize: 160
; MemoryBound: 0
	.text
	.p2align	2                               ; -- Begin function _Z56ncclDevFunc_ReduceScatter_RING_LL_PreMulSum_f8e5m2_0_0_1v
	.type	_Z56ncclDevFunc_ReduceScatter_RING_LL_PreMulSum_f8e5m2_0_0_1v,@function
_Z56ncclDevFunc_ReduceScatter_RING_LL_PreMulSum_f8e5m2_0_0_1v: ; @_Z56ncclDevFunc_ReduceScatter_RING_LL_PreMulSum_f8e5m2_0_0_1v
; %bb.0:
	s_waitcnt vmcnt(0) expcnt(0) lgkmcnt(0)
	s_mov_b32 s4, s33
	s_mov_b32 s33, s32
	s_or_saveexec_b64 s[6:7], -1
	buffer_store_dword v43, off, s[0:3], s33 offset:16 ; 4-byte Folded Spill
	s_mov_b64 exec, s[6:7]
	v_writelane_b32 v43, s4, 54
	s_addk_i32 s32, 0x800
	buffer_store_dword v40, off, s[0:3], s33 offset:12 ; 4-byte Folded Spill
	buffer_store_dword v41, off, s[0:3], s33 offset:8 ; 4-byte Folded Spill
	;; [unrolled: 1-line block ×3, first 2 shown]
	buffer_store_dword v63, off, s[0:3], s33 ; 4-byte Folded Spill
	v_writelane_b32 v43, s34, 0
	v_writelane_b32 v43, s35, 1
	;; [unrolled: 1-line block ×54, first 2 shown]
	s_trap 2
	ds_read_b32 v0, v0
	v_mov_b32_e32 v40, v31
	v_and_b32_e32 v41, 0x3ff, v40
	s_mov_b32 s80, s12
	s_mov_b64 s[78:79], s[8:9]
	s_waitcnt lgkmcnt(0)
	v_cmp_lt_i32_e32 vcc, v41, v0
	s_and_saveexec_b64 s[4:5], vcc
	s_cbranch_execz .LBB1_5
; %bb.1:
	s_load_dword s6, s[78:79], 0x0
	v_mov_b32_e32 v1, 0
	s_mov_b32 s10, 0
	v_mov_b32_e32 v4, v41
                                        ; implicit-def: $vgpr2
	s_waitcnt lgkmcnt(0)
	s_cmp_lt_u32 s80, s6
	s_cselect_b32 s6, 12, 18
	s_add_u32 s6, s78, s6
	s_addc_u32 s7, s79, 0
	global_load_ushort v1, v1, s[6:7]
	s_trap 2
	ds_read_b32 v3, v0
	s_mov_b64 s[6:7], 0
	s_waitcnt vmcnt(0) lgkmcnt(0)
	v_mul_lo_u32 v3, v3, v1
	s_branch .LBB1_3
.LBB1_2:                                ;   in Loop: Header=BB1_3 Depth=1
	s_or_b64 exec, exec, s[8:9]
	v_add_u32_e32 v4, v4, v1
	v_cmp_ge_i32_e32 vcc, v4, v0
	s_or_b64 s[6:7], vcc, s[6:7]
	v_add_u32_e32 v2, v2, v3
	s_andn2_b64 exec, exec, s[6:7]
	s_cbranch_execz .LBB1_5
.LBB1_3:                                ; =>This Inner Loop Header: Depth=1
	ds_read_b32 v5, v2
	s_waitcnt lgkmcnt(0)
	v_and_b32_e32 v5, 0x1000000, v5
	v_cmp_ne_u32_e32 vcc, 0, v5
	s_and_saveexec_b64 s[8:9], vcc
	s_cbranch_execz .LBB1_2
; %bb.4:                                ;   in Loop: Header=BB1_3 Depth=1
	ds_read_b64 v[6:7], v2 offset:104
	s_waitcnt lgkmcnt(0)
	flat_load_ubyte v5, v[6:7]
	v_mov_b32_e32 v7, s10
	s_waitcnt vmcnt(0) lgkmcnt(0)
	v_and_b32_e32 v6, 0xffff, v5
	ds_write_b64 v2, v[6:7] offset:104
	s_branch .LBB1_2
.LBB1_5:
	s_or_b64 exec, exec, s[4:5]
	s_waitcnt lgkmcnt(0)
	s_barrier
	s_trap 2
	ds_read_b32 v0, v0
	s_waitcnt lgkmcnt(0)
	v_cmp_gt_i32_e32 vcc, 1, v0
	s_cbranch_vccnz .LBB1_13
; %bb.6:
	s_mov_b32 s81, 0
	s_mov_b64 s[82:83], src_shared_base
	v_mov_b32_e32 v42, 6
	s_branch .LBB1_8
.LBB1_7:                                ;   in Loop: Header=BB1_8 Depth=1
	s_or_b64 exec, exec, s[84:85]
	s_trap 2
	ds_read_b32 v0, v0
	s_add_i32 s81, s81, 1
	s_waitcnt lgkmcnt(0)
	v_cmp_lt_i32_e32 vcc, s81, v0
	s_cbranch_vccz .LBB1_13
.LBB1_8:                                ; =>This Inner Loop Header: Depth=1
	s_trap 2
	ds_read_b32 v0, v0
	s_cmp_eq_u32 s81, 0
	s_cbranch_scc1 .LBB1_11
; %bb.9:                                ;   in Loop: Header=BB1_8 Depth=1
	s_trap 2
	s_waitcnt lgkmcnt(0)
	ds_read_b32 v1, v0
	s_waitcnt lgkmcnt(0)
	v_xor_b32_e32 v1, v1, v0
	v_and_b32_e32 v1, 0xff0000, v1
	v_cmp_eq_u32_e32 vcc, 0, v1
	s_cbranch_vccnz .LBB1_11
; %bb.10:                               ;   in Loop: Header=BB1_8 Depth=1
	s_barrier
	ds_read_b32 v0, v0
.LBB1_11:                               ;   in Loop: Header=BB1_8 Depth=1
	s_waitcnt lgkmcnt(0)
	v_lshlrev_b32_sdwa v1, v42, v0 dst_sel:DWORD dst_unused:UNUSED_PAD src0_sel:DWORD src1_sel:BYTE_2
	v_cmp_lt_u32_e32 vcc, v41, v1
	s_and_saveexec_b64 s[84:85], vcc
	s_cbranch_execz .LBB1_7
; %bb.12:                               ;   in Loop: Header=BB1_8 Depth=1
	s_mov_b64 s[8:9], s[78:79]
	s_mov_b32 s12, s80
	v_mov_b32_e32 v31, v40
	v_mov_b32_e32 v0, v41
	;; [unrolled: 1-line block ×3, first 2 shown]
	s_getpc_b64 s[4:5]
	s_add_u32 s4, s4, _ZN12_GLOBAL__N_17runRingI14__hip_fp8_e5m213FuncPreMulSumIS1_E7ProtoLLLi0ELi1ELi0EEEviiP15ncclDevWorkColl@rel32@lo+4
	s_addc_u32 s5, s5, _ZN12_GLOBAL__N_17runRingI14__hip_fp8_e5m213FuncPreMulSumIS1_E7ProtoLLLi0ELi1ELi0EEEviiP15ncclDevWorkColl@rel32@hi+12
	s_swappc_b64 s[30:31], s[4:5]
	s_branch .LBB1_7
.LBB1_13:
	buffer_load_dword v63, off, s[0:3], s33 ; 4-byte Folded Reload
	buffer_load_dword v42, off, s[0:3], s33 offset:4 ; 4-byte Folded Reload
	buffer_load_dword v41, off, s[0:3], s33 offset:8 ; 4-byte Folded Reload
	;; [unrolled: 1-line block ×3, first 2 shown]
	v_readlane_b32 s30, v43, 52
	v_readlane_b32 s31, v43, 53
	;; [unrolled: 1-line block ×55, first 2 shown]
	s_or_saveexec_b64 s[6:7], -1
	buffer_load_dword v43, off, s[0:3], s33 offset:16 ; 4-byte Folded Reload
	s_mov_b64 exec, s[6:7]
	s_addk_i32 s32, 0xf800
	s_mov_b32 s33, s4
	s_waitcnt vmcnt(0)
	s_setpc_b64 s[30:31]
.Lfunc_end1:
	.size	_Z56ncclDevFunc_ReduceScatter_RING_LL_PreMulSum_f8e5m2_0_0_1v, .Lfunc_end1-_Z56ncclDevFunc_ReduceScatter_RING_LL_PreMulSum_f8e5m2_0_0_1v
                                        ; -- End function
	.section	.AMDGPU.csdata,"",@progbits
; Function info:
; codeLenInByte = 1472
; NumSgprs: 90
; NumVgprs: 64
; NumAgprs: 56
; TotalNumVgprs: 120
; ScratchSize: 192
; MemoryBound: 0
	.text
	.p2align	2                               ; -- Begin function _ZN12_GLOBAL__N_17runRingI14__hip_fp8_e5m213FuncPreMulSumIS1_E7ProtoLLLi0ELi2ELi0EEEviiP15ncclDevWorkColl
	.type	_ZN12_GLOBAL__N_17runRingI14__hip_fp8_e5m213FuncPreMulSumIS1_E7ProtoLLLi0ELi2ELi0EEEviiP15ncclDevWorkColl,@function
_ZN12_GLOBAL__N_17runRingI14__hip_fp8_e5m213FuncPreMulSumIS1_E7ProtoLLLi0ELi2ELi0EEEviiP15ncclDevWorkColl: ; @_ZN12_GLOBAL__N_17runRingI14__hip_fp8_e5m213FuncPreMulSumIS1_E7ProtoLLLi0ELi2ELi0EEEviiP15ncclDevWorkColl
; %bb.0:
	s_waitcnt vmcnt(0) expcnt(0) lgkmcnt(0)
	s_or_saveexec_b64 s[4:5], -1
	buffer_store_dword v63, off, s[0:3], s32 offset:152 ; 4-byte Folded Spill
	s_mov_b64 exec, s[4:5]
	buffer_store_dword v40, off, s[0:3], s32 offset:148 ; 4-byte Folded Spill
	buffer_store_dword v41, off, s[0:3], s32 offset:144 ; 4-byte Folded Spill
	;; [unrolled: 1-line block ×37, first 2 shown]
	buffer_store_dword a55, off, s[0:3], s32 ; 4-byte Folded Spill
	v_writelane_b32 v63, s34, 0
	v_writelane_b32 v63, s35, 1
	;; [unrolled: 1-line block ×46, first 2 shown]
	s_trap 2
	flat_load_dword v7, v[2:3]
	flat_load_dwordx4 v[12:15], v[2:3] offset:72
	flat_load_dwordx2 v[18:19], v[2:3] offset:88
	ds_read_b32 v5, v0
	ds_read_b64 a[6:7], v0
	v_mov_b32_e32 v20, v1
                                        ; implicit-def: $agpr8_agpr9
	s_waitcnt lgkmcnt(0)
	v_readfirstlane_b32 s20, v5
	s_waitcnt vmcnt(0)
	v_not_b32_sdwa v6, v7 dst_sel:DWORD dst_unused:UNUSED_PAD src0_sel:BYTE_0
	v_add_u32_sdwa v4, v7, v6 dst_sel:DWORD dst_unused:UNUSED_PAD src0_sel:BYTE_1 src1_sel:DWORD
	v_ashrrev_i32_e32 v10, 31, v4
	v_mul_lo_u32 v11, v15, v4
	v_mad_u64_u32 v[8:9], s[4:5], v14, v4, 0
	v_accvgpr_write_b32 a2, v12
	v_mul_lo_u32 v4, v14, v10
	v_accvgpr_write_b32 a3, v13
	v_accvgpr_write_b32 a4, v14
	;; [unrolled: 1-line block ×3, first 2 shown]
	v_add3_u32 v4, v9, v4, v11
	v_cmp_ne_u32_sdwa s[4:5], v7, v5 src0_sel:BYTE_0 src1_sel:DWORD
                                        ; implicit-def: $vgpr10_vgpr11
	s_and_saveexec_b64 s[6:7], s[4:5]
	s_xor_b64 s[4:5], exec, s[6:7]
	s_cbranch_execz .LBB2_6
; %bb.1:
	v_cmp_ne_u32_sdwa s[6:7], v7, v5 src0_sel:BYTE_1 src1_sel:DWORD
                                        ; implicit-def: $vgpr10_vgpr11
                                        ; implicit-def: $agpr8_agpr9
	s_and_saveexec_b64 s[10:11], s[6:7]
	s_xor_b64 s[6:7], exec, s[10:11]
	s_cbranch_execz .LBB2_3
; %bb.2:
	flat_load_dwordx2 v[10:11], v[2:3] offset:96
	v_add_u32_e32 v5, v5, v6
	v_accvgpr_read_b32 v15, a5
	v_ashrrev_i32_e32 v6, 31, v5
	v_accvgpr_read_b32 v14, a4
	v_accvgpr_read_b32 v13, a3
	;; [unrolled: 1-line block ×3, first 2 shown]
	v_mul_lo_u32 v6, v14, v6
	v_mul_lo_u32 v7, v15, v5
	v_mad_u64_u32 v[12:13], s[10:11], v14, v5, v[12:13]
	v_add3_u32 v13, v7, v13, v6
	v_accvgpr_write_b32 a8, v12
	v_accvgpr_write_b32 a9, v13
	s_waitcnt vmcnt(0) lgkmcnt(0)
	v_lshrrev_b64 v[10:11], 17, v[10:11]
.LBB2_3:
	s_andn2_saveexec_b64 s[6:7], s[6:7]
	s_cbranch_execz .LBB2_5
; %bb.4:
	flat_load_dword v5, v[2:3] offset:100
	v_accvgpr_read_b32 v13, a3
	v_accvgpr_read_b32 v12, a2
	v_add_co_u32_e32 v6, vcc, v8, v12
	v_addc_co_u32_e32 v7, vcc, v4, v13, vcc
	v_accvgpr_write_b32 a9, v7
	v_pk_mov_b32 v[14:15], v[18:19], v[18:19] op_sel:[0,1]
	v_accvgpr_write_b32 a2, v12
	v_accvgpr_write_b32 a8, v6
	v_accvgpr_write_b32 a3, v13
	v_accvgpr_write_b32 a4, v14
	v_accvgpr_write_b32 a5, v15
	s_waitcnt vmcnt(0) lgkmcnt(0)
	v_lshrrev_b32_e32 v10, 6, v5
.LBB2_5:
	s_or_b64 exec, exec, s[6:7]
.LBB2_6:
	s_andn2_saveexec_b64 s[4:5], s[4:5]
	s_cbranch_execz .LBB2_8
; %bb.7:
	flat_load_dwordx2 v[6:7], v[2:3] offset:96
	v_pk_mov_b32 v[10:11], 0, 0
	v_accvgpr_write_b32 a8, v10
	v_accvgpr_mov_b32 a5, a3
	v_accvgpr_write_b32 a9, v11
	v_accvgpr_mov_b32 a4, a2
	s_waitcnt vmcnt(0) lgkmcnt(0)
	v_lshlrev_b64 v[10:11], 4, v[6:7]
.LBB2_8:
	s_or_b64 exec, exec, s[4:5]
	flat_load_dwordx2 v[14:15], v[2:3] offset:104
	flat_load_dwordx4 a[10:13], v[2:3] offset:16
	flat_load_ushort v13, v[2:3] offset:8
	flat_load_dword v12, v[2:3] offset:4
	v_mov_b32_e32 v2, 0
	s_mov_b32 s13, 0
	v_mov_b32_e32 v62, 0
	s_waitcnt vmcnt(0) lgkmcnt(0)
	v_cmp_ne_u16_sdwa s[6:7], v14, v2 src0_sel:BYTE_0 src1_sel:DWORD
	s_and_saveexec_b64 s[4:5], s[6:7]
	s_cbranch_execz .LBB2_16
; %bb.9:
	v_bfe_i32 v3, v14, 0, 8
	s_movk_i32 s6, 0xff80
	v_cmp_ne_u16_e32 vcc, s6, v3
	v_bfrev_b32_e32 v62, 1
	s_and_saveexec_b64 s[6:7], vcc
	s_cbranch_execz .LBB2_15
; %bb.10:
	s_movk_i32 s10, 0x7c
	v_and_b32_e32 v6, 0x7c, v14
	v_and_b32_e32 v5, 3, v14
	v_cmp_ne_u32_e32 vcc, s10, v6
                                        ; implicit-def: $vgpr62
	s_and_saveexec_b64 s[10:11], vcc
	s_xor_b64 s[10:11], exec, s[10:11]
	s_cbranch_execz .LBB2_12
; %bb.11:
	v_ffbh_u32_e32 v6, v5
	v_min_u32_e32 v11, 32, v6
	v_subrev_u32_e32 v6, 29, v11
	v_bfe_u32 v9, v14, 2, 5
	v_lshlrev_b64 v[6:7], v6, v[14:15]
	v_sub_u32_e32 v7, 30, v11
	v_and_b32_e32 v6, 3, v6
	v_cmp_eq_u32_e32 vcc, 0, v9
	v_cndmask_b32_e32 v7, v9, v7, vcc
	v_cndmask_b32_e32 v5, v5, v6, vcc
	v_bfrev_b32_e32 v6, 28
	v_bfe_i32 v3, v3, 0, 16
	v_lshl_add_u32 v6, v7, 23, v6
	s_brev_b32 s14, 1
	v_and_or_b32 v3, v3, s14, v6
	v_lshl_or_b32 v62, v5, 21, v3
                                        ; implicit-def: $vgpr5
                                        ; implicit-def: $vgpr3
.LBB2_12:
	s_andn2_saveexec_b64 s[10:11], s[10:11]
; %bb.13:
	v_mov_b32_e32 v6, 0xc7600000
	v_mov_b32_e32 v7, 0x47600000
	v_cmp_lt_i16_e32 vcc, -1, v3
	v_cndmask_b32_e32 v3, v6, v7, vcc
	v_mov_b32_e32 v6, 0x7f800001
	v_cmp_eq_u32_e32 vcc, 0, v5
	v_cndmask_b32_e32 v62, v6, v3, vcc
; %bb.14:
	s_or_b64 exec, exec, s[10:11]
.LBB2_15:
	s_or_b64 exec, exec, s[6:7]
.LBB2_16:
	s_or_b64 exec, exec, s[4:5]
	s_load_dword s4, s[8:9], 0x0
	v_lshrrev_b64 v[6:7], 31, v[12:13]
	v_mov_b32_e32 v12, v0
	v_and_b32_e32 v5, 63, v12
	v_and_b32_e32 v6, 3, v6
	s_waitcnt lgkmcnt(0)
	s_cmp_lt_u32 s12, s4
	s_cselect_b32 s4, 12, 18
	s_add_u32 s4, s8, s4
	s_addc_u32 s5, s9, 0
	global_load_ushort v9, v2, s[4:5]
	s_trap 2
	ds_read_b32 v2, v0
	v_pk_mov_b32 v[22:23], 0, 0
	v_cmp_eq_u32_e64 s[4:5], 0, v5
	s_waitcnt lgkmcnt(0)
	v_cmp_gt_i32_e32 vcc, 0, v2
	v_readfirstlane_b32 s8, v2
	s_cbranch_vccnz .LBB2_18
; %bb.17:
	s_trap 2
	ds_read_b64 v[12:13], v0
	v_mov_b32_e32 v3, 0
	v_lshlrev_b64 v[2:3], 3, v[2:3]
	v_and_b32_e32 v7, 0xffff, v6
	s_movk_i32 s6, 0xa8
	s_waitcnt lgkmcnt(0)
	v_add_co_u32_e32 v2, vcc, v12, v2
	v_addc_co_u32_e32 v3, vcc, v13, v3, vcc
	flat_load_dwordx2 v[2:3], v[2:3]
	s_mov_b32 s13, 1
	s_waitcnt vmcnt(0) lgkmcnt(0)
	v_mad_u64_u32 v[2:3], s[6:7], v7, s6, v[2:3]
	flat_load_dwordx2 a[18:19], v[2:3] offset:504
	flat_load_dwordx2 v[34:35], v[2:3] offset:608
	v_add_co_u32_e32 v2, vcc, 0x1f8, v2
	v_addc_co_u32_e32 v3, vcc, 0, v3, vcc
	v_cndmask_b32_e64 v25, 0, v3, s[4:5]
	v_cndmask_b32_e64 v24, 0, v2, s[4:5]
	s_branch .LBB2_19
.LBB2_18:
	v_pk_mov_b32 v[24:25], v[22:23], v[22:23] op_sel:[0,1]
                                        ; implicit-def: $vgpr34_vgpr35
                                        ; implicit-def: $agpr18_agpr19
.LBB2_19:
	s_trap 2
	ds_read_b32 v2, v0
	s_waitcnt lgkmcnt(0)
	v_cmp_gt_i32_e32 vcc, 0, v2
	s_cbranch_vccnz .LBB2_21
; %bb.20:
	s_trap 2
	ds_read_b64 v[12:13], v0
	v_mov_b32_e32 v3, 0
	v_lshlrev_b64 v[2:3], 3, v[2:3]
	v_and_b32_e32 v6, 0xffff, v6
	s_movk_i32 s4, 0xa8
	s_waitcnt lgkmcnt(0)
	v_add_co_u32_e32 v2, vcc, v12, v2
	v_addc_co_u32_e32 v3, vcc, v13, v3, vcc
	flat_load_dwordx2 v[2:3], v[2:3]
	v_cmp_eq_u32_e32 vcc, 0, v5
	s_waitcnt vmcnt(0) lgkmcnt(0)
	v_mad_u64_u32 v[2:3], s[4:5], v6, s4, v[2:3]
	flat_load_dwordx2 a[24:25], v[2:3]
	flat_load_dwordx2 v[16:17], v[2:3] offset:104
	v_cndmask_b32_e32 v23, 0, v3, vcc
	v_cndmask_b32_e32 v22, 0, v2, vcc
	s_branch .LBB2_22
.LBB2_21:
                                        ; implicit-def: $vgpr16_vgpr17
                                        ; implicit-def: $agpr24_agpr25
.LBB2_22:
	v_subrev_u32_e32 v2, 64, v20
	v_mov_b32_e32 v6, v0
	v_cmp_le_i32_e32 vcc, v2, v6
	v_pk_mov_b32 v[2:3], 0, 0
	v_cmp_gt_u32_e64 s[4:5], s13, v5
	v_accvgpr_write_b32 a21, v3
	v_accvgpr_write_b32 a29, v3
	s_and_b64 s[22:23], vcc, s[4:5]
	v_accvgpr_write_b32 a20, v2
	v_accvgpr_write_b32 a28, v2
                                        ; implicit-def: $agpr26_agpr27
	s_and_saveexec_b64 s[4:5], s[22:23]
	s_cbranch_execz .LBB2_24
; %bb.23:
	flat_load_dwordx2 a[28:29], v[24:25] offset:56
	flat_load_dwordx2 a[26:27], v[24:25] offset:104
.LBB2_24:
	s_or_b64 exec, exec, s[4:5]
	v_mov_b32_e32 v2, v0
	v_accvgpr_read_b32 v51, a21
	v_cmp_gt_i32_e64 s[4:5], s13, v2
	v_accvgpr_read_b32 v50, a20
                                        ; implicit-def: $vgpr52_vgpr53
	s_and_saveexec_b64 s[6:7], s[4:5]
	s_cbranch_execz .LBB2_26
; %bb.25:
	flat_load_dwordx2 v[50:51], v[22:23] offset:56
	s_waitcnt vmcnt(0) lgkmcnt(0)
	flat_load_dwordx2 v[52:53], v[50:51] glc
	s_waitcnt vmcnt(0)
	flat_load_dwordx4 a[20:23], v[22:23] offset:96
.LBB2_26:
	s_or_b64 exec, exec, s[6:7]
	v_accvgpr_read_b32 v15, a5
	v_accvgpr_read_b32 v14, a4
	;; [unrolled: 1-line block ×4, first 2 shown]
	v_cmp_ne_u64_e32 vcc, 0, v[14:15]
	v_pk_mov_b32 v[42:43], 0, 0
	s_and_saveexec_b64 s[24:25], vcc
	s_cbranch_execz .LBB2_1148
; %bb.27:
	v_add_co_u32_e32 v1, vcc, v18, v12
	s_ashr_i32 s6, s8, 31
	v_addc_co_u32_e32 v2, vcc, v19, v13, vcc
	s_lshr_b32 s6, s6, 29
	v_add_co_u32_e32 v1, vcc, v1, v8
	s_ashr_i32 s21, s20, 31
	s_add_i32 s8, s8, s6
	v_accvgpr_write_b32 a3, v1
	v_addc_co_u32_e32 v1, vcc, v2, v4, vcc
	s_lshl_b64 s[6:7], s[20:21], 2
	v_accvgpr_read_b32 v2, a6
	v_accvgpr_write_b32 a32, v1
	v_mov_b32_e32 v1, s7
	v_accvgpr_read_b32 v3, a7
	v_add_co_u32_e32 v2, vcc, s6, v2
	v_addc_co_u32_e32 v1, vcc, v3, v1, vcc
	v_add_co_u32_e32 v2, vcc, -4, v2
	v_addc_co_u32_e32 v3, vcc, -1, v1, vcc
	v_accvgpr_write_b32 a35, v3
	v_accvgpr_write_b32 a34, v2
	s_waitcnt vmcnt(0) lgkmcnt(0)
	v_accvgpr_read_b32 v2, a20
	v_mov_b32_e32 v55, 0
	v_accvgpr_read_b32 v3, a21
	v_accvgpr_read_b32 v4, a22
	;; [unrolled: 1-line block ×3, first 2 shown]
	v_and_b32_e32 v1, 63, v31
	v_ashrrev_i32_e32 v21, 31, v20
	s_ashr_i32 s10, s8, 3
	s_ashr_i32 s60, s8, 7
	v_and_b32_e32 v6, 0x1fffff0, v10
	v_mov_b32_e32 v7, v55
	v_cmp_ne_u64_e64 s[8:9], 0, v[2:3]
	v_cmp_eq_u32_e64 s[12:13], 0, v1
	v_lshrrev_b32_e32 v1, 26, v21
	v_accvgpr_read_b32 v2, a10
	v_accvgpr_write_b32 a1, v9
	v_cmp_ne_u32_sdwa s[28:29], v9, v20 src0_sel:WORD_0 src1_sel:DWORD
	v_pk_mov_b32 v[8:9], v[6:7], v[6:7] op_sel:[0,1]
	v_add_u32_e32 v1, v20, v1
	v_lshlrev_b32_e32 v6, 3, v0
	v_accvgpr_read_b32 v4, a12
	v_ashrrev_i32_e32 v10, 6, v1
	v_ashrrev_i32_e32 v1, 31, v6
	v_accvgpr_read_b32 v5, a13
	v_add_co_u32_e32 v7, vcc, v4, v6
	v_addc_co_u32_e32 v11, vcc, v5, v1, vcc
	v_accvgpr_read_b32 v3, a11
	v_add_co_u32_e32 v2, vcc, v2, v6
	v_accvgpr_write_b32 a40, v2
	v_accvgpr_write_b32 a33, v1
	v_addc_co_u32_e32 v1, vcc, v3, v1, vcc
	v_accvgpr_read_b32 v2, a8
	v_accvgpr_read_b32 v3, a9
	v_add_co_u32_e32 v2, vcc, v7, v2
	v_accvgpr_write_b32 a41, v1
	v_addc_co_u32_e32 v3, vcc, v11, v3, vcc
	v_lshlrev_b32_e32 v1, 6, v20
	v_accvgpr_write_b32 a43, v3
	v_accvgpr_write_b32 a44, v1
	v_ashrrev_i32_e32 v1, 31, v0
	v_accvgpr_write_b32 a42, v2
	v_accvgpr_write_b32 a2, v0
	v_lshlrev_b64 v[0:1], 4, v[0:1]
	v_accvgpr_read_b32 v2, a24
	s_and_b32 s21, s10, -16
	v_accvgpr_read_b32 v4, a28
	v_accvgpr_read_b32 v3, a25
	v_add_co_u32_e32 v0, vcc, v2, v0
	v_accvgpr_write_b32 a16, v24
	v_accvgpr_write_b32 a14, v22
	s_cmp_gt_i32 s20, 2
	v_accvgpr_read_b32 v5, a29
	v_accvgpr_write_b32 a45, v0
	v_addc_co_u32_e32 v0, vcc, v3, v1, vcc
	s_mov_b32 s36, -1
	v_ashrrev_i32_e32 v1, 31, v10
	v_lshlrev_b32_e32 v56, 3, v20
	v_pk_mov_b32 v[44:45], 0, 0
	v_accvgpr_write_b32 a10, v50
	v_accvgpr_write_b32 a31, v9
	v_accvgpr_write_b32 a17, v25
	v_accvgpr_write_b32 a15, v23
	s_mov_b64 s[26:27], 0
	v_cmp_ne_u64_e64 s[6:7], 0, v[50:51]
	v_cmp_ne_u32_e64 s[10:11], 64, v20
	v_accvgpr_write_b32 a0, v31
	s_cselect_b64 s[30:31], -1, 0
	v_cmp_ne_u64_e64 s[14:15], 0, v[4:5]
	v_accvgpr_write_b32 a38, v6
	v_accvgpr_write_b32 a37, v7
	;; [unrolled: 1-line block ×4, first 2 shown]
	s_movk_i32 s61, 0x2710
	s_mov_b64 s[34:35], 0x7ffffff8
	s_movk_i32 s62, 0xff
	s_movk_i32 s63, 0xff80
	;; [unrolled: 1-line block ×3, first 2 shown]
	s_brev_b32 s65, 1
	s_mov_b32 s37, 0xffffff
	s_movk_i32 s66, 0x80
	s_mov_b64 s[38:39], 0x7f800000
	s_mov_b64 s[40:41], 0x47600001
	s_movk_i32 s67, 0x72
	s_mov_b64 s[42:43], 0xffffff
	s_movk_i32 s68, 0x7f
	s_mov_b32 s69, 0x7c0000
	s_brev_b32 s70, 62
	s_mov_b32 s71, 0xc0c0500
	s_mov_b32 s72, 0x6050400
	;; [unrolled: 1-line block ×5, first 2 shown]
	v_bfrev_b32_e32 v7, 28
	v_mov_b32_e32 v47, -1
	v_mov_b32_e32 v24, 0xc7600000
	v_mov_b32_e32 v25, 0x47600000
	;; [unrolled: 1-line block ×6, first 2 shown]
	v_accvgpr_write_b32 a36, v10
	v_accvgpr_write_b32 a47, v1
	v_ashrrev_i32_e32 v57, 31, v56
	v_lshlrev_b64 v[58:59], 4, v[20:21]
	v_pk_mov_b32 v[42:43], v[44:45], v[44:45] op_sel:[0,1]
	v_pk_mov_b32 v[4:5], v[14:15], v[14:15] op_sel:[0,1]
	v_accvgpr_write_b32 a11, v51
	v_accvgpr_write_b32 a30, v8
	s_branch .LBB2_29
.LBB2_28:                               ;   in Loop: Header=BB2_29 Depth=1
	s_or_b64 exec, exec, s[16:17]
	v_add_co_u32_e32 v34, vcc, 1, v34
	v_addc_co_u32_e32 v35, vcc, 0, v35, vcc
	v_add_co_u32_e32 v44, vcc, v44, v8
	v_addc_co_u32_e32 v45, vcc, 0, v45, vcc
	v_cmp_ge_u64_e32 vcc, v[44:45], v[4:5]
	v_accvgpr_read_b32 v0, a42
	s_or_b64 s[26:27], vcc, s[26:27]
	v_accvgpr_read_b32 v1, a43
	v_add_co_u32_e32 v0, vcc, v0, v8
	v_addc_co_u32_e32 v1, vcc, 0, v1, vcc
	v_accvgpr_write_b32 a43, v1
	v_accvgpr_write_b32 a42, v0
	s_andn2_b64 exec, exec, s[26:27]
	s_cbranch_execz .LBB2_1147
.LBB2_29:                               ; =>This Loop Header: Depth=1
                                        ;     Child Loop BB2_36 Depth 2
                                        ;     Child Loop BB2_53 Depth 2
	;; [unrolled: 1-line block ×5, first 2 shown]
                                        ;       Child Loop BB2_253 Depth 3
                                        ;       Child Loop BB2_269 Depth 3
	;; [unrolled: 1-line block ×3, first 2 shown]
                                        ;         Child Loop BB2_290 Depth 4
                                        ;       Child Loop BB2_690 Depth 3
                                        ;       Child Loop BB2_246 Depth 3
                                        ;     Child Loop BB2_707 Depth 2
                                        ;       Child Loop BB2_715 Depth 3
                                        ;     Child Loop BB2_1134 Depth 2
	v_accvgpr_read_b32 v0, a34
	v_accvgpr_read_b32 v1, a35
	s_waitcnt vmcnt(0) lgkmcnt(0)
	flat_load_dword v2, v[0:1]
	v_sub_co_u32_e32 v0, vcc, v4, v44
	v_subb_co_u32_e32 v1, vcc, v5, v45, vcc
	v_cmp_lt_u64_e32 vcc, v[8:9], v[0:1]
	v_cndmask_b32_e32 v3, v0, v8, vcc
	v_lshl_add_u32 v0, v3, 1, 14
	v_and_b32_e32 v0, 0x7fffff0, v0
	v_accvgpr_write_b32 a50, v0
	s_and_saveexec_b64 s[16:17], s[6:7]
	s_cbranch_execz .LBB2_45
; %bb.30:                               ;   in Loop: Header=BB2_29 Depth=1
	v_accvgpr_read_b32 v8, a20
	v_accvgpr_read_b32 v10, a22
	;; [unrolled: 1-line block ×3, first 2 shown]
	v_add_co_u32_e32 v0, vcc, 1, v10
	v_addc_co_u32_e32 v1, vcc, 0, v11, vcc
	v_add_co_u32_e32 v4, vcc, 8, v52
	v_addc_co_u32_e32 v5, vcc, 0, v53, vcc
	v_cmp_lt_u64_e32 vcc, v[4:5], v[0:1]
	v_accvgpr_read_b32 v9, a21
	s_and_saveexec_b64 s[18:19], vcc
	s_cbranch_execz .LBB2_42
; %bb.31:                               ;   in Loop: Header=BB2_29 Depth=1
	s_sleep 1
	flat_load_dwordx2 v[52:53], v[50:51] glc
	v_cmp_eq_u32_e32 vcc, 0, v30
	s_and_saveexec_b64 s[44:45], vcc
	s_cbranch_execz .LBB2_41
; %bb.32:                               ;   in Loop: Header=BB2_29 Depth=1
	v_cndmask_b32_e64 v4, 0, 1, vcc
	s_mov_b64 s[46:47], 0
                                        ; implicit-def: $sgpr48_sgpr49
	s_branch .LBB2_36
.LBB2_33:                               ;   in Loop: Header=BB2_36 Depth=2
	s_or_b64 exec, exec, s[56:57]
	s_orn2_b64 s[54:55], s[54:55], exec
.LBB2_34:                               ;   in Loop: Header=BB2_36 Depth=2
	s_or_b64 exec, exec, s[52:53]
	s_xor_b64 vcc, s[54:55], -1
	s_andn2_b64 s[48:49], s[48:49], exec
	s_and_b64 vcc, vcc, exec
	s_or_b64 s[48:49], s[48:49], vcc
.LBB2_35:                               ;   in Loop: Header=BB2_36 Depth=2
	s_or_b64 exec, exec, s[50:51]
	s_and_b64 vcc, exec, s[48:49]
	s_or_b64 s[46:47], vcc, s[46:47]
	s_andn2_b64 exec, exec, s[46:47]
	s_cbranch_execz .LBB2_40
.LBB2_36:                               ;   Parent Loop BB2_29 Depth=1
                                        ; =>  This Inner Loop Header: Depth=2
	s_waitcnt vmcnt(0) lgkmcnt(0)
	v_add_co_u32_e32 v8, vcc, 8, v52
	v_addc_co_u32_e32 v9, vcc, 0, v53, vcc
	v_cmp_lt_u64_e32 vcc, v[8:9], v[0:1]
	v_mov_b32_e32 v30, 0
	s_or_b64 s[48:49], s[48:49], exec
	s_and_saveexec_b64 s[50:51], vcc
	s_cbranch_execz .LBB2_35
; %bb.37:                               ;   in Loop: Header=BB2_36 Depth=2
	s_sleep 1
	flat_load_dwordx2 v[52:53], v[50:51] glc
	v_add_u32_e32 v4, 1, v4
	v_cmp_eq_u32_e32 vcc, s61, v4
	s_mov_b64 s[54:55], -1
	v_mov_b32_e32 v30, 0
	s_and_saveexec_b64 s[52:53], vcc
	s_cbranch_execz .LBB2_34
; %bb.38:                               ;   in Loop: Header=BB2_36 Depth=2
	s_trap 2
	ds_read_b64 v[4:5], v0
	v_mov_b32_e32 v30, 0
	s_waitcnt vmcnt(0) lgkmcnt(0)
	flat_load_dword v5, v[4:5] glc
	s_waitcnt vmcnt(0) lgkmcnt(0)
	buffer_invl2
	buffer_wbinvl1_vol
	v_mov_b32_e32 v4, 0
	v_cmp_ne_u32_e32 vcc, 0, v5
	s_and_saveexec_b64 s[56:57], vcc
	s_cbranch_execz .LBB2_33
; %bb.39:                               ;   in Loop: Header=BB2_36 Depth=2
	v_mov_b32_e32 v30, 1
	s_xor_b64 s[54:55], exec, -1
	ds_write_b32 v0, v5
	s_trap 2
	s_branch .LBB2_33
.LBB2_40:                               ;   in Loop: Header=BB2_29 Depth=1
	s_or_b64 exec, exec, s[46:47]
.LBB2_41:                               ;   in Loop: Header=BB2_29 Depth=1
	s_or_b64 exec, exec, s[44:45]
.LBB2_42:                               ;   in Loop: Header=BB2_29 Depth=1
	s_or_b64 exec, exec, s[18:19]
	s_and_saveexec_b64 s[18:19], s[8:9]
	s_cbranch_execz .LBB2_44
; %bb.43:                               ;   in Loop: Header=BB2_29 Depth=1
	v_accvgpr_read_b32 v10, a20
	v_accvgpr_read_b32 v12, a22
	v_and_b32_e32 v54, 0x7ffffff8, v12
	v_mov_b32_e32 v4, s21
	v_cmp_eq_u64_e32 vcc, s[34:35], v[54:55]
	v_accvgpr_read_b32 v5, a50
	v_accvgpr_read_b32 v11, a21
	v_cndmask_b32_e32 v4, v5, v4, vcc
	v_and_b32_e32 v8, 7, v12
	v_ashrrev_i32_e32 v5, 31, v4
	v_mad_u64_u32 v[8:9], vcc, v8, 24, v[10:11]
	flat_store_dwordx2 v[8:9], v[4:5] offset:8
	s_waitcnt vmcnt(0)
.LBB2_44:                               ;   in Loop: Header=BB2_29 Depth=1
	s_or_b64 exec, exec, s[18:19]
	v_accvgpr_write_b32 a23, v1
	v_accvgpr_read_b32 v8, a30
	v_accvgpr_write_b32 a22, v0
	v_accvgpr_read_b32 v9, a31
.LBB2_45:                               ;   in Loop: Header=BB2_29 Depth=1
	s_or_b64 exec, exec, s[16:17]
	s_and_saveexec_b64 s[16:17], s[10:11]
	s_cbranch_execz .LBB2_64
; %bb.46:                               ;   in Loop: Header=BB2_29 Depth=1
	s_and_saveexec_b64 s[18:19], s[28:29]
	s_xor_b64 s[18:19], exec, s[18:19]
	s_cbranch_execz .LBB2_61
; %bb.47:                               ;   in Loop: Header=BB2_29 Depth=1
	s_and_saveexec_b64 s[44:45], s[12:13]
	s_cbranch_execz .LBB2_60
; %bb.48:                               ;   in Loop: Header=BB2_29 Depth=1
	s_mov_b64 s[48:49], exec
	v_mbcnt_lo_u32_b32 v0, s48, 0
	v_mbcnt_hi_u32_b32 v0, s49, v0
	v_cmp_eq_u32_e32 vcc, 0, v0
	s_waitcnt vmcnt(0) lgkmcnt(0)
	buffer_wbinvl1_vol
	s_and_saveexec_b64 s[46:47], vcc
	s_cbranch_execz .LBB2_50
; %bb.49:                               ;   in Loop: Header=BB2_29 Depth=1
	s_bcnt1_i32_b64 vcc_lo, s[48:49]
	v_mov_b32_e32 v54, vcc_lo
	ds_add_u64 v0, v[54:55]
	s_trap 2
.LBB2_50:                               ;   in Loop: Header=BB2_29 Depth=1
	s_or_b64 exec, exec, s[46:47]
	s_trap 2
	ds_read_b64 v[0:1], v0
	v_accvgpr_read_b32 v4, a36
	v_add_co_u32_e32 v42, vcc, v42, v4
	v_accvgpr_read_b32 v5, a47
	v_addc_co_u32_e32 v43, vcc, v43, v5, vcc
	s_waitcnt lgkmcnt(0)
	v_cmp_lt_u64_e32 vcc, v[0:1], v[42:43]
	s_and_saveexec_b64 s[46:47], vcc
	s_cbranch_execz .LBB2_59
; %bb.51:                               ;   in Loop: Header=BB2_29 Depth=1
	s_mov_b32 s58, 0
	s_mov_b64 s[48:49], 0
                                        ; implicit-def: $sgpr50_sgpr51
                                        ; implicit-def: $sgpr52_sgpr53
	s_branch .LBB2_53
.LBB2_52:                               ;   in Loop: Header=BB2_53 Depth=2
	s_or_b64 exec, exec, s[56:57]
	s_and_b64 vcc, exec, vcc
	s_or_b64 s[48:49], vcc, s[48:49]
	s_andn2_b64 vcc, s[50:51], exec
	s_and_b64 s[50:51], s[52:53], exec
	s_or_b64 s[50:51], vcc, s[50:51]
	s_andn2_b64 exec, exec, s[48:49]
	s_cbranch_execz .LBB2_57
.LBB2_53:                               ;   Parent Loop BB2_29 Depth=1
                                        ; =>  This Inner Loop Header: Depth=2
	s_add_i32 s58, s58, 1
	s_cmpk_lg_i32 s58, 0x2710
	s_cselect_b64 s[54:55], -1, 0
	s_and_b64 vcc, exec, s[54:55]
                                        ; implicit-def: $sgpr56_sgpr57
	s_cbranch_vccnz .LBB2_55
; %bb.54:                               ;   in Loop: Header=BB2_53 Depth=2
	s_trap 2
	ds_read_b64 v[0:1], v0
	s_andn2_b64 s[54:55], s[54:55], exec
	s_mov_b32 s58, 0
	s_mov_b64 s[56:57], -1
	s_waitcnt lgkmcnt(0)
	flat_load_dword v0, v[0:1] glc
	s_waitcnt vmcnt(0) lgkmcnt(0)
	buffer_invl2
	buffer_wbinvl1_vol
	v_cmp_eq_u32_e32 vcc, 0, v0
	s_and_b64 vcc, vcc, exec
	s_or_b64 s[54:55], s[54:55], vcc
.LBB2_55:                               ;   in Loop: Header=BB2_53 Depth=2
	s_andn2_b64 s[52:53], s[52:53], exec
	s_and_b64 s[56:57], s[56:57], exec
	s_mov_b64 vcc, -1
	s_or_b64 s[52:53], s[52:53], s[56:57]
	s_and_saveexec_b64 s[56:57], s[54:55]
	s_cbranch_execz .LBB2_52
; %bb.56:                               ;   in Loop: Header=BB2_53 Depth=2
	s_sleep 1
	s_trap 2
	ds_read_b64 v[0:1], v0
	s_andn2_b64 s[52:53], s[52:53], exec
	s_waitcnt lgkmcnt(0)
	v_cmp_ge_u64_e32 vcc, v[0:1], v[42:43]
	s_orn2_b64 vcc, vcc, exec
	s_branch .LBB2_52
.LBB2_57:                               ;   in Loop: Header=BB2_29 Depth=1
	s_or_b64 exec, exec, s[48:49]
	s_and_saveexec_b64 vcc, s[50:51]
	s_xor_b64 vcc, exec, vcc
	s_cbranch_execz .LBB2_59
; %bb.58:                               ;   in Loop: Header=BB2_29 Depth=1
	v_mov_b32_e32 v0, 1
	ds_write_b32 v0, v0
	s_trap 2
.LBB2_59:                               ;   in Loop: Header=BB2_29 Depth=1
	s_or_b64 exec, exec, s[46:47]
	;;#ASMSTART
	s_wakeup
	;;#ASMEND
.LBB2_60:                               ;   in Loop: Header=BB2_29 Depth=1
	s_or_b64 exec, exec, s[44:45]
.LBB2_61:                               ;   in Loop: Header=BB2_29 Depth=1
	s_andn2_saveexec_b64 s[18:19], s[18:19]
	s_cbranch_execz .LBB2_63
; %bb.62:                               ;   in Loop: Header=BB2_29 Depth=1
	s_waitcnt vmcnt(0) lgkmcnt(0)
	buffer_wbinvl1_vol
	s_barrier
.LBB2_63:                               ;   in Loop: Header=BB2_29 Depth=1
	s_or_b64 exec, exec, s[18:19]
.LBB2_64:                               ;   in Loop: Header=BB2_29 Depth=1
	s_or_b64 exec, exec, s[16:17]
	v_accvgpr_read_b32 v0, a38
	v_sub_u32_e32 v46, v3, v0
	v_cmp_lt_i32_e64 s[16:17], 0, v46
	v_and_b32_e32 v1, 7, v16
	v_accvgpr_read_b32 v0, a2
	s_mov_b64 s[44:45], exec
	v_accvgpr_write_b32 a49, v45
	s_and_b64 s[18:19], s[44:45], s[16:17]
	v_accvgpr_write_b32 a48, v44
	s_mov_b64 exec, s[18:19]
	s_cbranch_execz .LBB2_232
; %bb.65:                               ;   in Loop: Header=BB2_29 Depth=1
	v_accvgpr_read_b32 v14, a42
	s_waitcnt vmcnt(0) lgkmcnt(0)
	v_ashrrev_i32_e32 v0, 31, v2
	v_accvgpr_read_b32 v12, a3
	v_accvgpr_read_b32 v15, a43
	;; [unrolled: 1-line block ×3, first 2 shown]
	v_mul_lo_u32 v4, v1, s60
	v_mad_u64_u32 v[10:11], s[18:19], v12, v2, v[14:15]
	v_mul_lo_u32 v9, v9, v2
	v_mul_lo_u32 v0, v12, v0
	v_ashrrev_i32_e32 v5, 31, v4
	v_mov_b32_e32 v3, v16
	v_add_co_u32_e64 v8, vcc, 0, 0
	v_add3_u32 v11, v9, v11, v0
	v_mul_lo_u32 v0, v12, v2
	v_addc_co_u32_e32 v3, vcc, 1, v3, vcc
	v_add_lshl_u32 v9, v14, v0, 3
	v_lshlrev_b64 v[4:5], 4, v[4:5]
	v_accvgpr_read_b32 v0, a45
	v_add_co_u32_e32 v18, vcc, v0, v4
	v_accvgpr_read_b32 v0, a46
	v_addc_co_u32_e32 v19, vcc, v0, v5, vcc
	s_mov_b64 s[46:47], 0
	v_mov_b32_e32 v21, v46
	v_accvgpr_read_b32 v0, a2
	v_accvgpr_read_b32 v12, a44
	s_branch .LBB2_67
.LBB2_66:                               ;   in Loop: Header=BB2_67 Depth=2
	s_or_b64 exec, exec, s[18:19]
	v_lshlrev_b32_e32 v5, 8, v23
	v_and_b32_e32 v2, 0xff, v26
	v_perm_b32 v5, v5, v22, s71
	v_lshlrev_b32_e32 v22, 8, v29
	v_lshlrev_b32_e32 v2, 16, v2
	v_perm_b32 v22, v22, v28, s71
	v_add_co_u32_e32 v10, vcc, v10, v56
	v_lshl_or_b32 v2, v27, 24, v2
	v_lshlrev_b32_e32 v4, 24, v4
	v_lshl_or_b32 v22, v31, 16, v22
	v_sub_u32_e32 v21, v21, v56
	v_addc_co_u32_e32 v11, vcc, v11, v57, vcc
	v_or3_b32 v2, v2, v5, v8
	v_or3_b32 v4, v4, v22, v8
	v_mov_b32_e32 v5, v3
	v_cmp_gt_i32_e32 vcc, 1, v21
	global_store_dwordx4 v[18:19], v[2:5], off
	s_or_b64 s[46:47], vcc, s[46:47]
	v_add_co_u32_e32 v18, vcc, v18, v58
	v_add_u32_e32 v0, v0, v20
	v_add_u32_e32 v9, v9, v12
	v_addc_co_u32_e32 v19, vcc, v19, v59, vcc
	s_andn2_b64 exec, exec, s[46:47]
	s_cbranch_execz .LBB2_231
.LBB2_67:                               ;   Parent Loop BB2_29 Depth=1
                                        ; =>  This Inner Loop Header: Depth=2
	v_and_b32_e32 v4, -4, v10
	v_mov_b32_e32 v5, v11
	global_load_dword v22, v[4:5], off glc slc
	v_min_u32_e32 v23, 8, v21
	v_and_b32_e32 v26, 3, v10
	v_add_co_u32_e32 v26, vcc, v26, v23
	v_addc_co_u32_e64 v27, s[18:19], 0, 0, vcc
	v_mov_b32_e32 v2, 0
	v_cmp_lt_u64_e32 vcc, 4, v[26:27]
	v_mov_b32_e32 v28, 0
	s_and_saveexec_b64 s[18:19], vcc
	s_cbranch_execz .LBB2_69
; %bb.68:                               ;   in Loop: Header=BB2_67 Depth=2
	global_load_dword v28, v[4:5], off offset:4 glc slc
.LBB2_69:                               ;   in Loop: Header=BB2_67 Depth=2
	s_or_b64 exec, exec, s[18:19]
	v_cmp_lt_u64_e32 vcc, 8, v[26:27]
	v_mov_b32_e32 v29, 0
	s_and_saveexec_b64 s[18:19], vcc
	s_cbranch_execz .LBB2_71
; %bb.70:                               ;   in Loop: Header=BB2_67 Depth=2
	global_load_dword v29, v[4:5], off offset:8 glc slc
.LBB2_71:                               ;   in Loop: Header=BB2_67 Depth=2
	s_or_b64 exec, exec, s[18:19]
	s_waitcnt vmcnt(0)
	v_alignbit_b32 v54, v28, v22, v9
	v_cmp_ne_u16_sdwa vcc, v54, v55 src0_sel:BYTE_0 src1_sel:DWORD
	s_and_saveexec_b64 s[18:19], vcc
	s_cbranch_execz .LBB2_79
; %bb.72:                               ;   in Loop: Header=BB2_67 Depth=2
	v_cmp_ne_u16_sdwa vcc, sext(v54), s63 src0_sel:BYTE_0 src1_sel:DWORD
	v_bfrev_b32_e32 v2, 1
	s_and_saveexec_b64 s[48:49], vcc
	s_cbranch_execz .LBB2_78
; %bb.73:                               ;   in Loop: Header=BB2_67 Depth=2
	v_and_b32_e32 v2, 0x7c, v54
	v_and_b32_e32 v4, 3, v54
	v_cmp_ne_u32_e32 vcc, s64, v2
                                        ; implicit-def: $vgpr2
	s_and_saveexec_b64 s[50:51], vcc
	s_xor_b64 s[50:51], exec, s[50:51]
	s_cbranch_execz .LBB2_75
; %bb.74:                               ;   in Loop: Header=BB2_67 Depth=2
	v_ffbh_u32_e32 v5, v4
	v_bfe_u32 v2, v54, 2, 5
	v_min_u32_e32 v5, 32, v5
	v_subrev_u32_e32 v22, 29, v5
	v_sub_u32_e32 v5, 30, v5
	v_cmp_eq_u32_e32 vcc, 0, v2
	v_lshlrev_b64 v[22:23], v22, v[54:55]
	v_cndmask_b32_e32 v2, v2, v5, vcc
	v_and_b32_e32 v22, 3, v22
	v_lshlrev_b32_e32 v5, 24, v54
	v_lshl_add_u32 v2, v2, 23, v7
	v_cndmask_b32_e32 v4, v4, v22, vcc
	v_and_or_b32 v2, v5, s65, v2
	v_lshl_or_b32 v2, v4, 21, v2
                                        ; implicit-def: $vgpr4
.LBB2_75:                               ;   in Loop: Header=BB2_67 Depth=2
	s_andn2_saveexec_b64 s[50:51], s[50:51]
; %bb.76:                               ;   in Loop: Header=BB2_67 Depth=2
	v_cmp_gt_i16_sdwa vcc, sext(v54), v47 src0_sel:BYTE_0 src1_sel:DWORD
	v_cndmask_b32_e32 v2, v24, v25, vcc
	v_cmp_eq_u32_e32 vcc, 0, v4
	v_cndmask_b32_e32 v2, v6, v2, vcc
; %bb.77:                               ;   in Loop: Header=BB2_67 Depth=2
	s_or_b64 exec, exec, s[50:51]
.LBB2_78:                               ;   in Loop: Header=BB2_67 Depth=2
	s_or_b64 exec, exec, s[48:49]
.LBB2_79:                               ;   in Loop: Header=BB2_67 Depth=2
	s_or_b64 exec, exec, s[18:19]
	v_mul_f32_e32 v23, v62, v2
	v_and_b32_sdwa v2, v23, s66 dst_sel:DWORD dst_unused:UNUSED_PAD src0_sel:BYTE_3 src1_sel:DWORD
	v_and_b32_e32 v26, 0x7f800000, v23
	v_mov_b32_e32 v27, v55
	v_and_b32_e32 v4, 0x7fffff, v23
	v_mov_b32_e32 v5, v55
	v_or_b32_e32 v22, 0x7b, v2
	v_cmp_ne_u64_e32 vcc, s[38:39], v[26:27]
	s_and_saveexec_b64 s[18:19], vcc
	s_xor_b64 s[48:49], exec, s[18:19]
	s_cbranch_execz .LBB2_89
; %bb.80:                               ;   in Loop: Header=BB2_67 Depth=2
	v_and_b32_e32 v26, 0x7fffffff, v23
	v_mov_b32_e32 v27, v55
	v_cmp_gt_u64_e32 vcc, s[40:41], v[26:27]
	s_and_saveexec_b64 s[50:51], vcc
	s_cbranch_execz .LBB2_88
; %bb.81:                               ;   in Loop: Header=BB2_67 Depth=2
	v_cmp_ne_u32_e32 vcc, 0, v23
	v_mov_b32_e32 v22, 0
	s_and_saveexec_b64 s[52:53], vcc
	s_cbranch_execz .LBB2_87
; %bb.82:                               ;   in Loop: Header=BB2_67 Depth=2
	v_bfe_u32 v22, v23, 23, 8
	v_sub_u32_e32 v26, 0x71, v22
	v_cmp_gt_u32_e32 vcc, s67, v22
	v_cndmask_b32_e32 v26, 0, v26, vcc
	v_cmp_eq_u32_e32 vcc, 0, v22
	v_cndmask_b32_e32 v26, v26, v49, vcc
	v_add_u32_e32 v23, 0xffffff81, v22
	v_add_u32_e32 v22, 21, v26
	v_or_b32_e32 v27, 0x800000, v4
	v_cndmask_b32_e32 v31, v23, v48, vcc
	v_lshlrev_b64 v[22:23], v22, -1
	v_cndmask_b32_e32 v4, v27, v4, vcc
	v_not_b32_e32 v22, v22
	v_and_b32_e32 v32, v4, v22
	v_add_u32_e32 v22, 20, v26
	v_lshrrev_b64 v[4:5], v26, v[4:5]
	v_not_b32_e32 v23, v23
	v_lshlrev_b64 v[36:37], v22, 1
	v_lshrrev_b32_e32 v22, 23, v4
	v_and_b32_e32 v33, 0, v23
	v_add3_u32 v26, v26, v31, v22
	v_bfe_u32 v22, v4, 21, 1
	v_add_u32_e32 v22, -1, v22
	v_cmp_eq_u64_e32 vcc, v[32:33], v[36:37]
	v_cndmask_b32_e32 v22, 0, v22, vcc
	v_add_u32_e32 v22, v22, v4
	v_and_b32_e32 v22, 0x1fffff, v22
	v_add_co_u32_e32 v4, vcc, v22, v4
	v_add_u32_e32 v23, 14, v26
	v_addc_co_u32_e32 v5, vcc, 0, v5, vcc
	v_cmp_ne_u32_e32 vcc, 0, v23
                                        ; implicit-def: $vgpr22
	s_and_saveexec_b64 s[18:19], vcc
	s_xor_b64 s[18:19], exec, s[18:19]
; %bb.83:                               ;   in Loop: Header=BB2_67 Depth=2
	v_add_u32_e32 v22, 15, v26
	v_cmp_lt_u64_e32 vcc, s[42:43], v[4:5]
	v_cndmask_b32_e32 v22, v23, v22, vcc
	v_cndmask_b32_e64 v23, 0, 1, vcc
	v_lshrrev_b64 v[4:5], v23, v[4:5]
; %bb.84:                               ;   in Loop: Header=BB2_67 Depth=2
	s_andn2_saveexec_b64 s[18:19], s[18:19]
; %bb.85:                               ;   in Loop: Header=BB2_67 Depth=2
	v_bfe_u32 v22, v4, 23, 1
; %bb.86:                               ;   in Loop: Header=BB2_67 Depth=2
	s_or_b64 exec, exec, s[18:19]
	v_lshrrev_b64 v[4:5], 21, v[4:5]
	v_cmp_gt_i32_e32 vcc, 32, v22
	v_cndmask_b32_e32 v5, 0, v5, vcc
	v_cndmask_b32_e32 v4, 3, v4, vcc
	v_cmp_eq_u64_e64 s[18:19], 0, v[4:5]
	v_min_i32_e32 v5, 31, v22
	v_cmp_eq_u32_e32 vcc, 0, v22
	v_lshlrev_b32_e32 v5, 2, v5
	v_and_or_b32 v4, v4, 3, v5
	s_and_b64 s[18:19], vcc, s[18:19]
	v_cndmask_b32_e64 v4, v4, 0, s[18:19]
	v_or_b32_e32 v22, v4, v2
.LBB2_87:                               ;   in Loop: Header=BB2_67 Depth=2
	s_or_b64 exec, exec, s[52:53]
.LBB2_88:                               ;   in Loop: Header=BB2_67 Depth=2
	s_or_b64 exec, exec, s[50:51]
                                        ; implicit-def: $vgpr23
                                        ; implicit-def: $vgpr4_vgpr5
.LBB2_89:                               ;   in Loop: Header=BB2_67 Depth=2
	s_andn2_saveexec_b64 s[18:19], s[48:49]
; %bb.90:                               ;   in Loop: Header=BB2_67 Depth=2
	v_or_b32_sdwa v2, v23, s68 dst_sel:DWORD dst_unused:UNUSED_PAD src0_sel:BYTE_3 src1_sel:DWORD
	v_cmp_eq_u64_e32 vcc, 0, v[4:5]
	v_cndmask_b32_e32 v22, v2, v22, vcc
; %bb.91:                               ;   in Loop: Header=BB2_67 Depth=2
	s_or_b64 exec, exec, s[18:19]
	v_lshrrev_b16_e32 v4, 8, v54
	v_cmp_ne_u16_e32 vcc, 0, v4
	v_mov_b32_e32 v2, 0
	s_and_saveexec_b64 s[18:19], vcc
	s_cbranch_execz .LBB2_99
; %bb.92:                               ;   in Loop: Header=BB2_67 Depth=2
	v_cmp_ne_u16_e32 vcc, s66, v4
	v_bfrev_b32_e32 v2, 1
	s_and_saveexec_b64 s[48:49], vcc
	s_cbranch_execz .LBB2_98
; %bb.93:                               ;   in Loop: Header=BB2_67 Depth=2
	v_and_b32_e32 v2, 0x7c, v4
	v_and_b32_e32 v23, 3, v4
	v_cmp_ne_u32_e32 vcc, s64, v2
                                        ; implicit-def: $vgpr2
	s_and_saveexec_b64 s[50:51], vcc
	s_xor_b64 s[50:51], exec, s[50:51]
	s_cbranch_execz .LBB2_95
; %bb.94:                               ;   in Loop: Header=BB2_67 Depth=2
	v_ffbh_u32_e32 v26, v23
	v_min_u32_e32 v26, 32, v26
	v_mov_b32_e32 v5, v55
	v_subrev_u32_e32 v27, 29, v26
	v_bfe_u32 v2, v4, 2, 5
	v_lshlrev_b64 v[4:5], v27, v[4:5]
	v_sub_u32_e32 v5, 30, v26
	v_cmp_eq_u32_e32 vcc, 0, v2
	v_cndmask_b32_e32 v2, v2, v5, vcc
	v_and_b32_e32 v4, 3, v4
	v_lshlrev_b32_e32 v5, 16, v54
	v_lshl_add_u32 v2, v2, 23, v7
	v_cndmask_b32_e32 v4, v23, v4, vcc
	v_and_or_b32 v2, v5, s65, v2
	v_lshl_or_b32 v2, v4, 21, v2
                                        ; implicit-def: $vgpr23
.LBB2_95:                               ;   in Loop: Header=BB2_67 Depth=2
	s_andn2_saveexec_b64 s[50:51], s[50:51]
; %bb.96:                               ;   in Loop: Header=BB2_67 Depth=2
	v_cmp_lt_i16_e32 vcc, -1, v54
	v_cndmask_b32_e32 v2, v24, v25, vcc
	v_cmp_eq_u32_e32 vcc, 0, v23
	v_cndmask_b32_e32 v2, v6, v2, vcc
; %bb.97:                               ;   in Loop: Header=BB2_67 Depth=2
	s_or_b64 exec, exec, s[50:51]
.LBB2_98:                               ;   in Loop: Header=BB2_67 Depth=2
	s_or_b64 exec, exec, s[48:49]
.LBB2_99:                               ;   in Loop: Header=BB2_67 Depth=2
	s_or_b64 exec, exec, s[18:19]
	v_mul_f32_e32 v26, v62, v2
	v_and_b32_sdwa v2, v26, s66 dst_sel:DWORD dst_unused:UNUSED_PAD src0_sel:BYTE_3 src1_sel:DWORD
	v_and_b32_e32 v32, 0x7f800000, v26
	v_mov_b32_e32 v33, v55
	v_and_b32_e32 v4, 0x7fffff, v26
	v_mov_b32_e32 v5, v55
	v_or_b32_e32 v23, 0x7b, v2
	v_cmp_ne_u64_e32 vcc, s[38:39], v[32:33]
	s_and_saveexec_b64 s[18:19], vcc
	s_xor_b64 s[48:49], exec, s[18:19]
	s_cbranch_execz .LBB2_109
; %bb.100:                              ;   in Loop: Header=BB2_67 Depth=2
	v_and_b32_e32 v32, 0x7fffffff, v26
	v_mov_b32_e32 v33, v55
	v_cmp_gt_u64_e32 vcc, s[40:41], v[32:33]
	s_and_saveexec_b64 s[50:51], vcc
	s_cbranch_execz .LBB2_108
; %bb.101:                              ;   in Loop: Header=BB2_67 Depth=2
	v_cmp_ne_u32_e32 vcc, 0, v26
	v_mov_b32_e32 v23, 0
	s_and_saveexec_b64 s[52:53], vcc
	s_cbranch_execz .LBB2_107
; %bb.102:                              ;   in Loop: Header=BB2_67 Depth=2
	v_bfe_u32 v23, v26, 23, 8
	v_sub_u32_e32 v27, 0x71, v23
	v_cmp_gt_u32_e32 vcc, s67, v23
	v_cndmask_b32_e32 v27, 0, v27, vcc
	v_cmp_eq_u32_e32 vcc, 0, v23
	v_add_u32_e32 v26, 0xffffff81, v23
	v_cndmask_b32_e32 v38, v27, v49, vcc
	v_cndmask_b32_e32 v23, v26, v48, vcc
	v_add_u32_e32 v26, 21, v38
	v_or_b32_e32 v31, 0x800000, v4
	v_lshlrev_b64 v[26:27], v26, -1
	v_cndmask_b32_e32 v4, v31, v4, vcc
	v_not_b32_e32 v26, v26
	v_and_b32_e32 v32, v4, v26
	v_add_u32_e32 v26, 20, v38
	v_lshrrev_b64 v[4:5], v38, v[4:5]
	v_not_b32_e32 v27, v27
	v_lshlrev_b64 v[36:37], v26, 1
	v_lshrrev_b32_e32 v26, 23, v4
	v_and_b32_e32 v33, 0, v27
	v_add3_u32 v27, v38, v23, v26
	v_bfe_u32 v23, v4, 21, 1
	v_add_u32_e32 v23, -1, v23
	v_cmp_eq_u64_e32 vcc, v[32:33], v[36:37]
	v_cndmask_b32_e32 v23, 0, v23, vcc
	v_add_u32_e32 v23, v23, v4
	v_and_b32_e32 v23, 0x1fffff, v23
	v_add_co_u32_e32 v4, vcc, v23, v4
	v_add_u32_e32 v26, 14, v27
	v_addc_co_u32_e32 v5, vcc, 0, v5, vcc
	v_cmp_ne_u32_e32 vcc, 0, v26
                                        ; implicit-def: $vgpr23
	s_and_saveexec_b64 s[18:19], vcc
	s_xor_b64 s[18:19], exec, s[18:19]
; %bb.103:                              ;   in Loop: Header=BB2_67 Depth=2
	v_add_u32_e32 v23, 15, v27
	v_cmp_lt_u64_e32 vcc, s[42:43], v[4:5]
	v_cndmask_b32_e32 v23, v26, v23, vcc
	v_cndmask_b32_e64 v26, 0, 1, vcc
	v_lshrrev_b64 v[4:5], v26, v[4:5]
; %bb.104:                              ;   in Loop: Header=BB2_67 Depth=2
	s_andn2_saveexec_b64 s[18:19], s[18:19]
; %bb.105:                              ;   in Loop: Header=BB2_67 Depth=2
	v_bfe_u32 v23, v4, 23, 1
; %bb.106:                              ;   in Loop: Header=BB2_67 Depth=2
	s_or_b64 exec, exec, s[18:19]
	v_lshrrev_b64 v[4:5], 21, v[4:5]
	v_cmp_gt_i32_e32 vcc, 32, v23
	v_cndmask_b32_e32 v5, 0, v5, vcc
	v_cndmask_b32_e32 v4, 3, v4, vcc
	v_cmp_eq_u64_e64 s[18:19], 0, v[4:5]
	v_min_i32_e32 v5, 31, v23
	v_cmp_eq_u32_e32 vcc, 0, v23
	v_lshlrev_b32_e32 v5, 2, v5
	v_and_or_b32 v4, v4, 3, v5
	s_and_b64 s[18:19], vcc, s[18:19]
	v_cndmask_b32_e64 v4, v4, 0, s[18:19]
	v_or_b32_e32 v23, v4, v2
.LBB2_107:                              ;   in Loop: Header=BB2_67 Depth=2
	s_or_b64 exec, exec, s[52:53]
.LBB2_108:                              ;   in Loop: Header=BB2_67 Depth=2
	s_or_b64 exec, exec, s[50:51]
                                        ; implicit-def: $vgpr26
                                        ; implicit-def: $vgpr4_vgpr5
.LBB2_109:                              ;   in Loop: Header=BB2_67 Depth=2
	s_andn2_saveexec_b64 s[18:19], s[48:49]
; %bb.110:                              ;   in Loop: Header=BB2_67 Depth=2
	v_or_b32_sdwa v2, v26, s68 dst_sel:DWORD dst_unused:UNUSED_PAD src0_sel:BYTE_3 src1_sel:DWORD
	v_cmp_eq_u64_e32 vcc, 0, v[4:5]
	v_cndmask_b32_e32 v23, v2, v23, vcc
; %bb.111:                              ;   in Loop: Header=BB2_67 Depth=2
	s_or_b64 exec, exec, s[18:19]
	v_and_b32_sdwa v5, v54, s62 dst_sel:DWORD dst_unused:UNUSED_PAD src0_sel:WORD_1 src1_sel:DWORD
	v_lshrrev_b32_e32 v4, 16, v54
	v_cmp_ne_u16_e32 vcc, 0, v5
	v_mov_b32_e32 v2, 0
	s_and_saveexec_b64 s[18:19], vcc
	s_cbranch_execz .LBB2_119
; %bb.112:                              ;   in Loop: Header=BB2_67 Depth=2
	v_cmp_ne_u16_e32 vcc, s66, v5
	v_bfrev_b32_e32 v2, 1
	s_and_saveexec_b64 s[48:49], vcc
	s_cbranch_execz .LBB2_118
; %bb.113:                              ;   in Loop: Header=BB2_67 Depth=2
	v_and_b32_e32 v2, 0x7c0000, v54
	v_bfe_u32 v5, v54, 16, 2
	v_cmp_ne_u32_e32 vcc, s69, v2
                                        ; implicit-def: $vgpr2
	s_and_saveexec_b64 s[50:51], vcc
	s_xor_b64 s[50:51], exec, s[50:51]
	s_cbranch_execz .LBB2_115
; %bb.114:                              ;   in Loop: Header=BB2_67 Depth=2
	v_ffbh_u32_e32 v26, v5
	v_min_u32_e32 v31, 32, v26
	v_lshrrev_b32_e32 v2, 16, v54
	v_bfe_u32 v4, v54, 18, 5
	v_subrev_u32_e32 v26, 29, v31
	v_lshlrev_b64 v[26:27], v26, v[2:3]
	v_sub_u32_e32 v2, 30, v31
	v_cmp_eq_u32_e32 vcc, 0, v4
	v_and_b32_e32 v26, 3, v26
	v_cndmask_b32_e32 v2, v4, v2, vcc
	v_cndmask_b32_e32 v4, v5, v26, vcc
	v_lshlrev_b32_e32 v5, 8, v54
	v_lshl_add_u32 v2, v2, 23, v7
	v_and_or_b32 v2, v5, s65, v2
	v_lshl_or_b32 v2, v4, 21, v2
                                        ; implicit-def: $vgpr5
                                        ; implicit-def: $vgpr4
.LBB2_115:                              ;   in Loop: Header=BB2_67 Depth=2
	s_andn2_saveexec_b64 s[50:51], s[50:51]
; %bb.116:                              ;   in Loop: Header=BB2_67 Depth=2
	v_cmp_gt_i16_sdwa vcc, sext(v4), v47 src0_sel:BYTE_0 src1_sel:DWORD
	v_cndmask_b32_e32 v2, v24, v25, vcc
	v_cmp_eq_u32_e32 vcc, 0, v5
	v_cndmask_b32_e32 v2, v6, v2, vcc
; %bb.117:                              ;   in Loop: Header=BB2_67 Depth=2
	s_or_b64 exec, exec, s[50:51]
.LBB2_118:                              ;   in Loop: Header=BB2_67 Depth=2
	s_or_b64 exec, exec, s[48:49]
.LBB2_119:                              ;   in Loop: Header=BB2_67 Depth=2
	s_or_b64 exec, exec, s[18:19]
	v_mul_f32_e32 v27, v62, v2
	v_and_b32_sdwa v2, v27, s66 dst_sel:DWORD dst_unused:UNUSED_PAD src0_sel:BYTE_3 src1_sel:DWORD
	v_and_b32_e32 v32, 0x7f800000, v27
	v_mov_b32_e32 v33, v55
	v_and_b32_e32 v4, 0x7fffff, v27
	v_mov_b32_e32 v5, v55
	v_or_b32_e32 v26, 0x7b, v2
	v_cmp_ne_u64_e32 vcc, s[38:39], v[32:33]
	s_and_saveexec_b64 s[18:19], vcc
	s_xor_b64 s[48:49], exec, s[18:19]
	s_cbranch_execz .LBB2_129
; %bb.120:                              ;   in Loop: Header=BB2_67 Depth=2
	v_and_b32_e32 v32, 0x7fffffff, v27
	v_mov_b32_e32 v33, v55
	v_cmp_gt_u64_e32 vcc, s[40:41], v[32:33]
	s_and_saveexec_b64 s[50:51], vcc
	s_cbranch_execz .LBB2_128
; %bb.121:                              ;   in Loop: Header=BB2_67 Depth=2
	v_cmp_ne_u32_e32 vcc, 0, v27
	v_mov_b32_e32 v26, 0
	s_and_saveexec_b64 s[52:53], vcc
	s_cbranch_execz .LBB2_127
; %bb.122:                              ;   in Loop: Header=BB2_67 Depth=2
	v_bfe_u32 v26, v27, 23, 8
	v_sub_u32_e32 v31, 0x71, v26
	v_cmp_gt_u32_e32 vcc, s67, v26
	v_cndmask_b32_e32 v31, 0, v31, vcc
	v_cmp_eq_u32_e32 vcc, 0, v26
	v_cndmask_b32_e32 v31, v31, v49, vcc
	v_add_u32_e32 v27, 0xffffff81, v26
	v_add_u32_e32 v26, 21, v31
	v_or_b32_e32 v32, 0x800000, v4
	v_cndmask_b32_e32 v38, v27, v48, vcc
	v_lshlrev_b64 v[26:27], v26, -1
	v_cndmask_b32_e32 v4, v32, v4, vcc
	v_not_b32_e32 v26, v26
	v_and_b32_e32 v32, v4, v26
	v_add_u32_e32 v26, 20, v31
	v_lshrrev_b64 v[4:5], v31, v[4:5]
	v_not_b32_e32 v27, v27
	v_lshlrev_b64 v[36:37], v26, 1
	v_lshrrev_b32_e32 v26, 23, v4
	v_and_b32_e32 v33, 0, v27
	v_add3_u32 v31, v31, v38, v26
	v_bfe_u32 v26, v4, 21, 1
	v_add_u32_e32 v26, -1, v26
	v_cmp_eq_u64_e32 vcc, v[32:33], v[36:37]
	v_cndmask_b32_e32 v26, 0, v26, vcc
	v_add_u32_e32 v26, v26, v4
	v_and_b32_e32 v26, 0x1fffff, v26
	v_add_co_u32_e32 v4, vcc, v26, v4
	v_add_u32_e32 v27, 14, v31
	v_addc_co_u32_e32 v5, vcc, 0, v5, vcc
	v_cmp_ne_u32_e32 vcc, 0, v27
                                        ; implicit-def: $vgpr26
	s_and_saveexec_b64 s[18:19], vcc
	s_xor_b64 s[18:19], exec, s[18:19]
; %bb.123:                              ;   in Loop: Header=BB2_67 Depth=2
	v_add_u32_e32 v26, 15, v31
	v_cmp_lt_u64_e32 vcc, s[42:43], v[4:5]
	v_cndmask_b32_e32 v26, v27, v26, vcc
	v_cndmask_b32_e64 v27, 0, 1, vcc
	v_lshrrev_b64 v[4:5], v27, v[4:5]
; %bb.124:                              ;   in Loop: Header=BB2_67 Depth=2
	s_andn2_saveexec_b64 s[18:19], s[18:19]
; %bb.125:                              ;   in Loop: Header=BB2_67 Depth=2
	v_bfe_u32 v26, v4, 23, 1
; %bb.126:                              ;   in Loop: Header=BB2_67 Depth=2
	s_or_b64 exec, exec, s[18:19]
	v_lshrrev_b64 v[4:5], 21, v[4:5]
	v_cmp_gt_i32_e32 vcc, 32, v26
	v_cndmask_b32_e32 v5, 0, v5, vcc
	v_cndmask_b32_e32 v4, 3, v4, vcc
	v_cmp_eq_u64_e64 s[18:19], 0, v[4:5]
	v_min_i32_e32 v5, 31, v26
	v_cmp_eq_u32_e32 vcc, 0, v26
	v_lshlrev_b32_e32 v5, 2, v5
	v_and_or_b32 v4, v4, 3, v5
	s_and_b64 s[18:19], vcc, s[18:19]
	v_cndmask_b32_e64 v4, v4, 0, s[18:19]
	v_or_b32_e32 v26, v4, v2
.LBB2_127:                              ;   in Loop: Header=BB2_67 Depth=2
	s_or_b64 exec, exec, s[52:53]
.LBB2_128:                              ;   in Loop: Header=BB2_67 Depth=2
	s_or_b64 exec, exec, s[50:51]
                                        ; implicit-def: $vgpr27
                                        ; implicit-def: $vgpr4_vgpr5
.LBB2_129:                              ;   in Loop: Header=BB2_67 Depth=2
	s_andn2_saveexec_b64 s[18:19], s[48:49]
; %bb.130:                              ;   in Loop: Header=BB2_67 Depth=2
	v_or_b32_sdwa v2, v27, s68 dst_sel:DWORD dst_unused:UNUSED_PAD src0_sel:BYTE_3 src1_sel:DWORD
	v_cmp_eq_u64_e32 vcc, 0, v[4:5]
	v_cndmask_b32_e32 v26, v2, v26, vcc
; %bb.131:                              ;   in Loop: Header=BB2_67 Depth=2
	s_or_b64 exec, exec, s[18:19]
	v_cmp_lt_u32_e32 vcc, s37, v54
	v_mov_b32_e32 v4, 0
	s_and_saveexec_b64 s[18:19], vcc
	s_cbranch_execz .LBB2_139
; %bb.132:                              ;   in Loop: Header=BB2_67 Depth=2
	v_lshrrev_b32_e32 v2, 24, v54
	v_cmp_ne_u32_e32 vcc, s66, v2
	v_bfrev_b32_e32 v4, 1
	s_and_saveexec_b64 s[48:49], vcc
	s_cbranch_execz .LBB2_138
; %bb.133:                              ;   in Loop: Header=BB2_67 Depth=2
	v_and_b32_e32 v4, 0x7c000000, v54
	v_bfe_u32 v5, v54, 24, 2
	v_cmp_ne_u32_e32 vcc, s70, v4
                                        ; implicit-def: $vgpr4
	s_and_saveexec_b64 s[50:51], vcc
	s_xor_b64 s[50:51], exec, s[50:51]
	s_cbranch_execz .LBB2_135
; %bb.134:                              ;   in Loop: Header=BB2_67 Depth=2
	v_ffbh_u32_e32 v27, v5
	v_min_u32_e32 v27, 32, v27
	v_bfe_u32 v4, v54, 26, 5
	v_subrev_u32_e32 v31, 29, v27
	v_lshlrev_b64 v[32:33], v31, v[2:3]
	v_sub_u32_e32 v2, 30, v27
	v_cmp_eq_u32_e32 vcc, 0, v4
	v_cndmask_b32_e32 v2, v4, v2, vcc
	v_and_b32_e32 v27, 3, v32
	v_lshl_add_u32 v2, v2, 23, v7
	v_cndmask_b32_e32 v4, v5, v27, vcc
	v_and_or_b32 v2, v54, s65, v2
	v_lshl_or_b32 v4, v4, 21, v2
                                        ; implicit-def: $vgpr5
.LBB2_135:                              ;   in Loop: Header=BB2_67 Depth=2
	s_andn2_saveexec_b64 s[50:51], s[50:51]
; %bb.136:                              ;   in Loop: Header=BB2_67 Depth=2
	v_cmp_lt_i32_e32 vcc, -1, v54
	v_cndmask_b32_e32 v2, v24, v25, vcc
	v_cmp_eq_u32_e32 vcc, 0, v5
	v_cndmask_b32_e32 v4, v6, v2, vcc
; %bb.137:                              ;   in Loop: Header=BB2_67 Depth=2
	s_or_b64 exec, exec, s[50:51]
.LBB2_138:                              ;   in Loop: Header=BB2_67 Depth=2
	s_or_b64 exec, exec, s[48:49]
.LBB2_139:                              ;   in Loop: Header=BB2_67 Depth=2
	s_or_b64 exec, exec, s[18:19]
	v_mul_f32_e32 v4, v62, v4
	v_and_b32_sdwa v2, v4, s66 dst_sel:DWORD dst_unused:UNUSED_PAD src0_sel:BYTE_3 src1_sel:DWORD
	v_and_b32_e32 v32, 0x7f800000, v4
	v_mov_b32_e32 v33, v55
	v_and_b32_e32 v54, 0x7fffff, v4
	v_or_b32_e32 v27, 0x7b, v2
	v_cmp_ne_u64_e32 vcc, s[38:39], v[32:33]
	s_and_saveexec_b64 s[18:19], vcc
	s_xor_b64 s[48:49], exec, s[18:19]
	s_cbranch_execz .LBB2_149
; %bb.140:                              ;   in Loop: Header=BB2_67 Depth=2
	v_and_b32_e32 v32, 0x7fffffff, v4
	v_mov_b32_e32 v33, v55
	v_cmp_gt_u64_e32 vcc, s[40:41], v[32:33]
	s_and_saveexec_b64 s[50:51], vcc
	s_cbranch_execz .LBB2_148
; %bb.141:                              ;   in Loop: Header=BB2_67 Depth=2
	v_cmp_ne_u32_e32 vcc, 0, v4
	v_mov_b32_e32 v27, 0
	s_and_saveexec_b64 s[52:53], vcc
	s_cbranch_execz .LBB2_147
; %bb.142:                              ;   in Loop: Header=BB2_67 Depth=2
	v_bfe_u32 v4, v4, 23, 8
	v_sub_u32_e32 v27, 0x71, v4
	v_cmp_gt_u32_e32 vcc, s67, v4
	v_cndmask_b32_e32 v27, 0, v27, vcc
	v_cmp_eq_u32_e32 vcc, 0, v4
	v_or_b32_e32 v31, 0x800000, v54
	v_cndmask_b32_e32 v27, v27, v49, vcc
	v_add_u32_e32 v5, 0xffffff81, v4
	v_cndmask_b32_e32 v54, v31, v54, vcc
	v_add_u32_e32 v4, 21, v27
	v_cndmask_b32_e32 v32, v5, v48, vcc
	v_lshlrev_b64 v[4:5], v4, -1
	v_add_u32_e32 v31, 20, v27
	v_lshrrev_b64 v[40:41], v27, v[54:55]
	v_not_b32_e32 v5, v5
	v_not_b32_e32 v4, v4
	v_lshlrev_b64 v[36:37], v31, 1
	v_lshrrev_b32_e32 v31, 23, v40
	v_and_b32_e32 v5, 0, v5
	v_and_b32_e32 v4, v54, v4
	v_add3_u32 v32, v27, v32, v31
	v_bfe_u32 v27, v40, 21, 1
	v_add_u32_e32 v27, -1, v27
	v_cmp_eq_u64_e32 vcc, v[4:5], v[36:37]
	v_cndmask_b32_e32 v4, 0, v27, vcc
	v_add_u32_e32 v4, v4, v40
	v_and_b32_e32 v4, 0x1fffff, v4
	v_add_co_u32_e32 v4, vcc, v4, v40
	v_add_u32_e32 v31, 14, v32
	v_addc_co_u32_e32 v5, vcc, 0, v41, vcc
	v_cmp_ne_u32_e32 vcc, 0, v31
                                        ; implicit-def: $vgpr27
	s_and_saveexec_b64 s[18:19], vcc
	s_xor_b64 s[18:19], exec, s[18:19]
; %bb.143:                              ;   in Loop: Header=BB2_67 Depth=2
	v_add_u32_e32 v27, 15, v32
	v_cmp_lt_u64_e32 vcc, s[42:43], v[4:5]
	v_cndmask_b32_e32 v27, v31, v27, vcc
	v_cndmask_b32_e64 v31, 0, 1, vcc
	v_lshrrev_b64 v[4:5], v31, v[4:5]
; %bb.144:                              ;   in Loop: Header=BB2_67 Depth=2
	s_andn2_saveexec_b64 s[18:19], s[18:19]
; %bb.145:                              ;   in Loop: Header=BB2_67 Depth=2
	v_bfe_u32 v27, v4, 23, 1
; %bb.146:                              ;   in Loop: Header=BB2_67 Depth=2
	s_or_b64 exec, exec, s[18:19]
	v_lshrrev_b64 v[4:5], 21, v[4:5]
	v_cmp_gt_i32_e32 vcc, 32, v27
	v_cndmask_b32_e32 v5, 0, v5, vcc
	v_cndmask_b32_e32 v4, 3, v4, vcc
	v_cmp_eq_u64_e64 s[18:19], 0, v[4:5]
	v_min_i32_e32 v5, 31, v27
	v_cmp_eq_u32_e32 vcc, 0, v27
	v_lshlrev_b32_e32 v5, 2, v5
	v_and_or_b32 v4, v4, 3, v5
	s_and_b64 s[18:19], vcc, s[18:19]
	v_cndmask_b32_e64 v4, v4, 0, s[18:19]
	v_or_b32_e32 v27, v4, v2
.LBB2_147:                              ;   in Loop: Header=BB2_67 Depth=2
	s_or_b64 exec, exec, s[52:53]
.LBB2_148:                              ;   in Loop: Header=BB2_67 Depth=2
	s_or_b64 exec, exec, s[50:51]
                                        ; implicit-def: $vgpr4
.LBB2_149:                              ;   in Loop: Header=BB2_67 Depth=2
	s_andn2_saveexec_b64 s[18:19], s[48:49]
; %bb.150:                              ;   in Loop: Header=BB2_67 Depth=2
	v_or_b32_sdwa v2, v4, s68 dst_sel:DWORD dst_unused:UNUSED_PAD src0_sel:BYTE_3 src1_sel:DWORD
	v_cmp_eq_u64_e32 vcc, 0, v[54:55]
	v_cndmask_b32_e32 v27, v2, v27, vcc
; %bb.151:                              ;   in Loop: Header=BB2_67 Depth=2
	s_or_b64 exec, exec, s[18:19]
	v_alignbit_b32 v54, v29, v28, v9
	v_cmp_ne_u16_sdwa vcc, v54, v55 src0_sel:BYTE_0 src1_sel:DWORD
	v_mov_b32_e32 v2, 0
	s_and_saveexec_b64 s[18:19], vcc
	s_cbranch_execz .LBB2_159
; %bb.152:                              ;   in Loop: Header=BB2_67 Depth=2
	v_cmp_ne_u16_sdwa vcc, sext(v54), s63 src0_sel:BYTE_0 src1_sel:DWORD
	v_bfrev_b32_e32 v2, 1
	s_and_saveexec_b64 s[48:49], vcc
	s_cbranch_execz .LBB2_158
; %bb.153:                              ;   in Loop: Header=BB2_67 Depth=2
	v_and_b32_e32 v2, 0x7c, v54
	v_and_b32_e32 v4, 3, v54
	v_cmp_ne_u32_e32 vcc, s64, v2
                                        ; implicit-def: $vgpr2
	s_and_saveexec_b64 s[50:51], vcc
	s_xor_b64 s[50:51], exec, s[50:51]
	s_cbranch_execz .LBB2_155
; %bb.154:                              ;   in Loop: Header=BB2_67 Depth=2
	v_ffbh_u32_e32 v5, v4
	v_bfe_u32 v2, v54, 2, 5
	v_min_u32_e32 v5, 32, v5
	v_subrev_u32_e32 v28, 29, v5
	v_sub_u32_e32 v5, 30, v5
	v_cmp_eq_u32_e32 vcc, 0, v2
	v_lshlrev_b64 v[28:29], v28, v[54:55]
	v_cndmask_b32_e32 v2, v2, v5, vcc
	v_and_b32_e32 v28, 3, v28
	v_lshlrev_b32_e32 v5, 24, v54
	v_lshl_add_u32 v2, v2, 23, v7
	v_cndmask_b32_e32 v4, v4, v28, vcc
	v_and_or_b32 v2, v5, s65, v2
	v_lshl_or_b32 v2, v4, 21, v2
                                        ; implicit-def: $vgpr4
.LBB2_155:                              ;   in Loop: Header=BB2_67 Depth=2
	s_andn2_saveexec_b64 s[50:51], s[50:51]
; %bb.156:                              ;   in Loop: Header=BB2_67 Depth=2
	v_cmp_gt_i16_sdwa vcc, sext(v54), v47 src0_sel:BYTE_0 src1_sel:DWORD
	v_cndmask_b32_e32 v2, v24, v25, vcc
	v_cmp_eq_u32_e32 vcc, 0, v4
	v_cndmask_b32_e32 v2, v6, v2, vcc
; %bb.157:                              ;   in Loop: Header=BB2_67 Depth=2
	s_or_b64 exec, exec, s[50:51]
.LBB2_158:                              ;   in Loop: Header=BB2_67 Depth=2
	s_or_b64 exec, exec, s[48:49]
.LBB2_159:                              ;   in Loop: Header=BB2_67 Depth=2
	s_or_b64 exec, exec, s[18:19]
	v_mul_f32_e32 v29, v62, v2
	v_and_b32_sdwa v2, v29, s66 dst_sel:DWORD dst_unused:UNUSED_PAD src0_sel:BYTE_3 src1_sel:DWORD
	v_and_b32_e32 v32, 0x7f800000, v29
	v_mov_b32_e32 v33, v55
	v_and_b32_e32 v4, 0x7fffff, v29
	v_mov_b32_e32 v5, v55
	v_or_b32_e32 v28, 0x7b, v2
	v_cmp_ne_u64_e32 vcc, s[38:39], v[32:33]
	s_and_saveexec_b64 s[18:19], vcc
	s_xor_b64 s[48:49], exec, s[18:19]
	s_cbranch_execz .LBB2_169
; %bb.160:                              ;   in Loop: Header=BB2_67 Depth=2
	v_and_b32_e32 v32, 0x7fffffff, v29
	v_mov_b32_e32 v33, v55
	v_cmp_gt_u64_e32 vcc, s[40:41], v[32:33]
	s_and_saveexec_b64 s[50:51], vcc
	s_cbranch_execz .LBB2_168
; %bb.161:                              ;   in Loop: Header=BB2_67 Depth=2
	v_cmp_ne_u32_e32 vcc, 0, v29
	v_mov_b32_e32 v28, 0
	s_and_saveexec_b64 s[52:53], vcc
	s_cbranch_execz .LBB2_167
; %bb.162:                              ;   in Loop: Header=BB2_67 Depth=2
	v_bfe_u32 v28, v29, 23, 8
	v_sub_u32_e32 v31, 0x71, v28
	v_cmp_gt_u32_e32 vcc, s67, v28
	v_cndmask_b32_e32 v31, 0, v31, vcc
	v_cmp_eq_u32_e32 vcc, 0, v28
	v_cndmask_b32_e32 v31, v31, v49, vcc
	v_add_u32_e32 v29, 0xffffff81, v28
	v_add_u32_e32 v28, 21, v31
	v_or_b32_e32 v32, 0x800000, v4
	v_cndmask_b32_e32 v38, v29, v48, vcc
	v_lshlrev_b64 v[28:29], v28, -1
	v_cndmask_b32_e32 v4, v32, v4, vcc
	v_not_b32_e32 v28, v28
	v_and_b32_e32 v32, v4, v28
	v_add_u32_e32 v28, 20, v31
	v_lshrrev_b64 v[4:5], v31, v[4:5]
	v_not_b32_e32 v29, v29
	v_lshlrev_b64 v[36:37], v28, 1
	v_lshrrev_b32_e32 v28, 23, v4
	v_and_b32_e32 v33, 0, v29
	v_add3_u32 v31, v31, v38, v28
	v_bfe_u32 v28, v4, 21, 1
	v_add_u32_e32 v28, -1, v28
	v_cmp_eq_u64_e32 vcc, v[32:33], v[36:37]
	v_cndmask_b32_e32 v28, 0, v28, vcc
	v_add_u32_e32 v28, v28, v4
	v_and_b32_e32 v28, 0x1fffff, v28
	v_add_co_u32_e32 v4, vcc, v28, v4
	v_add_u32_e32 v29, 14, v31
	v_addc_co_u32_e32 v5, vcc, 0, v5, vcc
	v_cmp_ne_u32_e32 vcc, 0, v29
                                        ; implicit-def: $vgpr28
	s_and_saveexec_b64 s[18:19], vcc
	s_xor_b64 s[18:19], exec, s[18:19]
; %bb.163:                              ;   in Loop: Header=BB2_67 Depth=2
	v_add_u32_e32 v28, 15, v31
	v_cmp_lt_u64_e32 vcc, s[42:43], v[4:5]
	v_cndmask_b32_e32 v28, v29, v28, vcc
	v_cndmask_b32_e64 v29, 0, 1, vcc
	v_lshrrev_b64 v[4:5], v29, v[4:5]
; %bb.164:                              ;   in Loop: Header=BB2_67 Depth=2
	s_andn2_saveexec_b64 s[18:19], s[18:19]
; %bb.165:                              ;   in Loop: Header=BB2_67 Depth=2
	v_bfe_u32 v28, v4, 23, 1
; %bb.166:                              ;   in Loop: Header=BB2_67 Depth=2
	s_or_b64 exec, exec, s[18:19]
	v_lshrrev_b64 v[4:5], 21, v[4:5]
	v_cmp_gt_i32_e32 vcc, 32, v28
	v_cndmask_b32_e32 v5, 0, v5, vcc
	v_cndmask_b32_e32 v4, 3, v4, vcc
	v_cmp_eq_u64_e64 s[18:19], 0, v[4:5]
	v_min_i32_e32 v5, 31, v28
	v_cmp_eq_u32_e32 vcc, 0, v28
	v_lshlrev_b32_e32 v5, 2, v5
	v_and_or_b32 v4, v4, 3, v5
	s_and_b64 s[18:19], vcc, s[18:19]
	v_cndmask_b32_e64 v4, v4, 0, s[18:19]
	v_or_b32_e32 v28, v4, v2
.LBB2_167:                              ;   in Loop: Header=BB2_67 Depth=2
	s_or_b64 exec, exec, s[52:53]
.LBB2_168:                              ;   in Loop: Header=BB2_67 Depth=2
	s_or_b64 exec, exec, s[50:51]
                                        ; implicit-def: $vgpr29
                                        ; implicit-def: $vgpr4_vgpr5
.LBB2_169:                              ;   in Loop: Header=BB2_67 Depth=2
	s_andn2_saveexec_b64 s[18:19], s[48:49]
; %bb.170:                              ;   in Loop: Header=BB2_67 Depth=2
	v_or_b32_sdwa v2, v29, s68 dst_sel:DWORD dst_unused:UNUSED_PAD src0_sel:BYTE_3 src1_sel:DWORD
	v_cmp_eq_u64_e32 vcc, 0, v[4:5]
	v_cndmask_b32_e32 v28, v2, v28, vcc
; %bb.171:                              ;   in Loop: Header=BB2_67 Depth=2
	s_or_b64 exec, exec, s[18:19]
	v_lshrrev_b16_e32 v4, 8, v54
	v_cmp_ne_u16_e32 vcc, 0, v4
	v_mov_b32_e32 v2, 0
	s_and_saveexec_b64 s[18:19], vcc
	s_cbranch_execz .LBB2_179
; %bb.172:                              ;   in Loop: Header=BB2_67 Depth=2
	v_cmp_ne_u16_e32 vcc, s66, v4
	v_bfrev_b32_e32 v2, 1
	s_and_saveexec_b64 s[48:49], vcc
	s_cbranch_execz .LBB2_178
; %bb.173:                              ;   in Loop: Header=BB2_67 Depth=2
	v_and_b32_e32 v2, 0x7c, v4
	v_and_b32_e32 v29, 3, v4
	v_cmp_ne_u32_e32 vcc, s64, v2
                                        ; implicit-def: $vgpr2
	s_and_saveexec_b64 s[50:51], vcc
	s_xor_b64 s[50:51], exec, s[50:51]
	s_cbranch_execz .LBB2_175
; %bb.174:                              ;   in Loop: Header=BB2_67 Depth=2
	v_ffbh_u32_e32 v31, v29
	v_min_u32_e32 v31, 32, v31
	v_mov_b32_e32 v5, v55
	v_subrev_u32_e32 v32, 29, v31
	v_bfe_u32 v2, v4, 2, 5
	v_lshlrev_b64 v[4:5], v32, v[4:5]
	v_sub_u32_e32 v5, 30, v31
	v_cmp_eq_u32_e32 vcc, 0, v2
	v_cndmask_b32_e32 v2, v2, v5, vcc
	v_and_b32_e32 v4, 3, v4
	v_lshlrev_b32_e32 v5, 16, v54
	v_lshl_add_u32 v2, v2, 23, v7
	v_cndmask_b32_e32 v4, v29, v4, vcc
	v_and_or_b32 v2, v5, s65, v2
	v_lshl_or_b32 v2, v4, 21, v2
                                        ; implicit-def: $vgpr29
.LBB2_175:                              ;   in Loop: Header=BB2_67 Depth=2
	s_andn2_saveexec_b64 s[50:51], s[50:51]
; %bb.176:                              ;   in Loop: Header=BB2_67 Depth=2
	v_cmp_lt_i16_e32 vcc, -1, v54
	v_cndmask_b32_e32 v2, v24, v25, vcc
	v_cmp_eq_u32_e32 vcc, 0, v29
	v_cndmask_b32_e32 v2, v6, v2, vcc
; %bb.177:                              ;   in Loop: Header=BB2_67 Depth=2
	s_or_b64 exec, exec, s[50:51]
.LBB2_178:                              ;   in Loop: Header=BB2_67 Depth=2
	s_or_b64 exec, exec, s[48:49]
.LBB2_179:                              ;   in Loop: Header=BB2_67 Depth=2
	s_or_b64 exec, exec, s[18:19]
	v_mul_f32_e32 v31, v62, v2
	v_and_b32_sdwa v2, v31, s66 dst_sel:DWORD dst_unused:UNUSED_PAD src0_sel:BYTE_3 src1_sel:DWORD
	v_and_b32_e32 v32, 0x7f800000, v31
	v_mov_b32_e32 v33, v55
	v_and_b32_e32 v4, 0x7fffff, v31
	v_mov_b32_e32 v5, v55
	v_or_b32_e32 v29, 0x7b, v2
	v_cmp_ne_u64_e32 vcc, s[38:39], v[32:33]
	s_and_saveexec_b64 s[18:19], vcc
	s_xor_b64 s[48:49], exec, s[18:19]
	s_cbranch_execz .LBB2_189
; %bb.180:                              ;   in Loop: Header=BB2_67 Depth=2
	v_and_b32_e32 v32, 0x7fffffff, v31
	v_mov_b32_e32 v33, v55
	v_cmp_gt_u64_e32 vcc, s[40:41], v[32:33]
	s_and_saveexec_b64 s[50:51], vcc
	s_cbranch_execz .LBB2_188
; %bb.181:                              ;   in Loop: Header=BB2_67 Depth=2
	v_cmp_ne_u32_e32 vcc, 0, v31
	v_mov_b32_e32 v29, 0
	s_and_saveexec_b64 s[52:53], vcc
	s_cbranch_execz .LBB2_187
; %bb.182:                              ;   in Loop: Header=BB2_67 Depth=2
	v_bfe_u32 v29, v31, 23, 8
	v_sub_u32_e32 v32, 0x71, v29
	v_cmp_gt_u32_e32 vcc, s67, v29
	v_add_u32_e32 v31, 0xffffff81, v29
	v_cndmask_b32_e32 v32, 0, v32, vcc
	v_cmp_eq_u32_e32 vcc, 0, v29
	v_cndmask_b32_e32 v29, v31, v48, vcc
	v_cndmask_b32_e32 v31, v32, v49, vcc
	v_or_b32_e32 v33, 0x800000, v4
	v_add_u32_e32 v32, 21, v31
	v_cndmask_b32_e32 v4, v33, v4, vcc
	v_lshlrev_b64 v[32:33], v32, -1
	v_not_b32_e32 v32, v32
	v_and_b32_e32 v36, v4, v32
	v_add_u32_e32 v32, 20, v31
	v_lshrrev_b64 v[4:5], v31, v[4:5]
	v_not_b32_e32 v33, v33
	v_lshlrev_b64 v[40:41], v32, 1
	v_lshrrev_b32_e32 v32, 23, v4
	v_and_b32_e32 v37, 0, v33
	v_add3_u32 v32, v31, v29, v32
	v_bfe_u32 v29, v4, 21, 1
	v_add_u32_e32 v29, -1, v29
	v_cmp_eq_u64_e32 vcc, v[36:37], v[40:41]
	v_cndmask_b32_e32 v29, 0, v29, vcc
	v_add_u32_e32 v29, v29, v4
	v_and_b32_e32 v29, 0x1fffff, v29
	v_add_co_u32_e32 v4, vcc, v29, v4
	v_add_u32_e32 v31, 14, v32
	v_addc_co_u32_e32 v5, vcc, 0, v5, vcc
	v_cmp_ne_u32_e32 vcc, 0, v31
                                        ; implicit-def: $vgpr29
	s_and_saveexec_b64 s[18:19], vcc
	s_xor_b64 s[18:19], exec, s[18:19]
; %bb.183:                              ;   in Loop: Header=BB2_67 Depth=2
	v_add_u32_e32 v29, 15, v32
	v_cmp_lt_u64_e32 vcc, s[42:43], v[4:5]
	v_cndmask_b32_e32 v29, v31, v29, vcc
	v_cndmask_b32_e64 v31, 0, 1, vcc
	v_lshrrev_b64 v[4:5], v31, v[4:5]
; %bb.184:                              ;   in Loop: Header=BB2_67 Depth=2
	s_andn2_saveexec_b64 s[18:19], s[18:19]
; %bb.185:                              ;   in Loop: Header=BB2_67 Depth=2
	v_bfe_u32 v29, v4, 23, 1
; %bb.186:                              ;   in Loop: Header=BB2_67 Depth=2
	s_or_b64 exec, exec, s[18:19]
	v_lshrrev_b64 v[4:5], 21, v[4:5]
	v_cmp_gt_i32_e32 vcc, 32, v29
	v_cndmask_b32_e32 v5, 0, v5, vcc
	v_cndmask_b32_e32 v4, 3, v4, vcc
	v_cmp_eq_u64_e64 s[18:19], 0, v[4:5]
	v_min_i32_e32 v5, 31, v29
	v_cmp_eq_u32_e32 vcc, 0, v29
	v_lshlrev_b32_e32 v5, 2, v5
	v_and_or_b32 v4, v4, 3, v5
	s_and_b64 s[18:19], vcc, s[18:19]
	v_cndmask_b32_e64 v4, v4, 0, s[18:19]
	v_or_b32_e32 v29, v4, v2
.LBB2_187:                              ;   in Loop: Header=BB2_67 Depth=2
	s_or_b64 exec, exec, s[52:53]
.LBB2_188:                              ;   in Loop: Header=BB2_67 Depth=2
	s_or_b64 exec, exec, s[50:51]
                                        ; implicit-def: $vgpr31
                                        ; implicit-def: $vgpr4_vgpr5
.LBB2_189:                              ;   in Loop: Header=BB2_67 Depth=2
	s_andn2_saveexec_b64 s[18:19], s[48:49]
; %bb.190:                              ;   in Loop: Header=BB2_67 Depth=2
	v_or_b32_sdwa v2, v31, s68 dst_sel:DWORD dst_unused:UNUSED_PAD src0_sel:BYTE_3 src1_sel:DWORD
	v_cmp_eq_u64_e32 vcc, 0, v[4:5]
	v_cndmask_b32_e32 v29, v2, v29, vcc
; %bb.191:                              ;   in Loop: Header=BB2_67 Depth=2
	s_or_b64 exec, exec, s[18:19]
	v_and_b32_sdwa v5, v54, s62 dst_sel:DWORD dst_unused:UNUSED_PAD src0_sel:WORD_1 src1_sel:DWORD
	v_lshrrev_b32_e32 v2, 16, v54
	v_cmp_ne_u16_e32 vcc, 0, v5
	v_mov_b32_e32 v4, 0
	s_and_saveexec_b64 s[18:19], vcc
	s_cbranch_execz .LBB2_199
; %bb.192:                              ;   in Loop: Header=BB2_67 Depth=2
	v_cmp_ne_u16_e32 vcc, s66, v5
	v_bfrev_b32_e32 v4, 1
	s_and_saveexec_b64 s[48:49], vcc
	s_cbranch_execz .LBB2_198
; %bb.193:                              ;   in Loop: Header=BB2_67 Depth=2
	v_and_b32_e32 v4, 0x7c0000, v54
	v_bfe_u32 v5, v54, 16, 2
	v_cmp_ne_u32_e32 vcc, s69, v4
                                        ; implicit-def: $vgpr4
	s_and_saveexec_b64 s[50:51], vcc
	s_xor_b64 s[50:51], exec, s[50:51]
	s_cbranch_execz .LBB2_195
; %bb.194:                              ;   in Loop: Header=BB2_67 Depth=2
	v_ffbh_u32_e32 v31, v5
	v_min_u32_e32 v31, 32, v31
	v_bfe_u32 v4, v54, 18, 5
	v_subrev_u32_e32 v32, 29, v31
	v_lshlrev_b64 v[32:33], v32, v[2:3]
	v_sub_u32_e32 v2, 30, v31
	v_cmp_eq_u32_e32 vcc, 0, v4
	v_and_b32_e32 v31, 3, v32
	v_cndmask_b32_e32 v2, v4, v2, vcc
	v_cndmask_b32_e32 v4, v5, v31, vcc
	v_lshlrev_b32_e32 v5, 8, v54
	v_lshl_add_u32 v2, v2, 23, v7
	v_and_or_b32 v2, v5, s65, v2
	v_lshl_or_b32 v4, v4, 21, v2
                                        ; implicit-def: $vgpr5
                                        ; implicit-def: $vgpr2
.LBB2_195:                              ;   in Loop: Header=BB2_67 Depth=2
	s_andn2_saveexec_b64 s[50:51], s[50:51]
; %bb.196:                              ;   in Loop: Header=BB2_67 Depth=2
	v_cmp_gt_i16_sdwa vcc, sext(v2), v47 src0_sel:BYTE_0 src1_sel:DWORD
	v_cndmask_b32_e32 v2, v24, v25, vcc
	v_cmp_eq_u32_e32 vcc, 0, v5
	v_cndmask_b32_e32 v4, v6, v2, vcc
; %bb.197:                              ;   in Loop: Header=BB2_67 Depth=2
	s_or_b64 exec, exec, s[50:51]
.LBB2_198:                              ;   in Loop: Header=BB2_67 Depth=2
	s_or_b64 exec, exec, s[48:49]
.LBB2_199:                              ;   in Loop: Header=BB2_67 Depth=2
	s_or_b64 exec, exec, s[18:19]
	v_mul_f32_e32 v32, v62, v4
	v_and_b32_sdwa v2, v32, s66 dst_sel:DWORD dst_unused:UNUSED_PAD src0_sel:BYTE_3 src1_sel:DWORD
	v_and_b32_e32 v36, 0x7f800000, v32
	v_mov_b32_e32 v37, v55
	v_and_b32_e32 v4, 0x7fffff, v32
	v_mov_b32_e32 v5, v55
	v_or_b32_e32 v31, 0x7b, v2
	v_cmp_ne_u64_e32 vcc, s[38:39], v[36:37]
	s_and_saveexec_b64 s[18:19], vcc
	s_xor_b64 s[48:49], exec, s[18:19]
	s_cbranch_execz .LBB2_209
; %bb.200:                              ;   in Loop: Header=BB2_67 Depth=2
	v_and_b32_e32 v36, 0x7fffffff, v32
	v_mov_b32_e32 v37, v55
	v_cmp_gt_u64_e32 vcc, s[40:41], v[36:37]
	s_and_saveexec_b64 s[50:51], vcc
	s_cbranch_execz .LBB2_208
; %bb.201:                              ;   in Loop: Header=BB2_67 Depth=2
	v_cmp_ne_u32_e32 vcc, 0, v32
	v_mov_b32_e32 v31, 0
	s_and_saveexec_b64 s[52:53], vcc
	s_cbranch_execz .LBB2_207
; %bb.202:                              ;   in Loop: Header=BB2_67 Depth=2
	v_bfe_u32 v31, v32, 23, 8
	v_sub_u32_e32 v33, 0x71, v31
	v_cmp_gt_u32_e32 vcc, s67, v31
	v_cndmask_b32_e32 v33, 0, v33, vcc
	v_cmp_eq_u32_e32 vcc, 0, v31
	v_add_u32_e32 v32, 0xffffff81, v31
	v_cndmask_b32_e32 v38, v33, v49, vcc
	v_cndmask_b32_e32 v31, v32, v48, vcc
	v_add_u32_e32 v32, 21, v38
	v_or_b32_e32 v36, 0x800000, v4
	v_lshlrev_b64 v[32:33], v32, -1
	v_cndmask_b32_e32 v4, v36, v4, vcc
	v_not_b32_e32 v32, v32
	v_and_b32_e32 v36, v4, v32
	v_add_u32_e32 v32, 20, v38
	v_lshrrev_b64 v[4:5], v38, v[4:5]
	v_not_b32_e32 v33, v33
	v_lshlrev_b64 v[40:41], v32, 1
	v_lshrrev_b32_e32 v32, 23, v4
	v_and_b32_e32 v37, 0, v33
	v_add3_u32 v33, v38, v31, v32
	v_bfe_u32 v31, v4, 21, 1
	v_add_u32_e32 v31, -1, v31
	v_cmp_eq_u64_e32 vcc, v[36:37], v[40:41]
	v_cndmask_b32_e32 v31, 0, v31, vcc
	v_add_u32_e32 v31, v31, v4
	v_and_b32_e32 v31, 0x1fffff, v31
	v_add_co_u32_e32 v4, vcc, v31, v4
	v_add_u32_e32 v32, 14, v33
	v_addc_co_u32_e32 v5, vcc, 0, v5, vcc
	v_cmp_ne_u32_e32 vcc, 0, v32
                                        ; implicit-def: $vgpr31
	s_and_saveexec_b64 s[18:19], vcc
	s_xor_b64 s[18:19], exec, s[18:19]
; %bb.203:                              ;   in Loop: Header=BB2_67 Depth=2
	v_add_u32_e32 v31, 15, v33
	v_cmp_lt_u64_e32 vcc, s[42:43], v[4:5]
	v_cndmask_b32_e32 v31, v32, v31, vcc
	v_cndmask_b32_e64 v32, 0, 1, vcc
	v_lshrrev_b64 v[4:5], v32, v[4:5]
; %bb.204:                              ;   in Loop: Header=BB2_67 Depth=2
	s_andn2_saveexec_b64 s[18:19], s[18:19]
; %bb.205:                              ;   in Loop: Header=BB2_67 Depth=2
	v_bfe_u32 v31, v4, 23, 1
; %bb.206:                              ;   in Loop: Header=BB2_67 Depth=2
	s_or_b64 exec, exec, s[18:19]
	v_lshrrev_b64 v[4:5], 21, v[4:5]
	v_cmp_gt_i32_e32 vcc, 32, v31
	v_cndmask_b32_e32 v5, 0, v5, vcc
	v_cndmask_b32_e32 v4, 3, v4, vcc
	v_cmp_eq_u64_e64 s[18:19], 0, v[4:5]
	v_min_i32_e32 v5, 31, v31
	v_lshlrev_b32_e32 v5, 2, v5
	v_cmp_eq_u32_e32 vcc, 0, v31
	v_and_b32_e32 v5, 0xfc, v5
	v_and_or_b32 v4, v4, 3, v5
	s_and_b64 s[18:19], vcc, s[18:19]
	v_cndmask_b32_e64 v4, v4, 0, s[18:19]
	v_or_b32_e32 v31, v4, v2
.LBB2_207:                              ;   in Loop: Header=BB2_67 Depth=2
	s_or_b64 exec, exec, s[52:53]
.LBB2_208:                              ;   in Loop: Header=BB2_67 Depth=2
	s_or_b64 exec, exec, s[50:51]
                                        ; implicit-def: $vgpr32
                                        ; implicit-def: $vgpr4_vgpr5
.LBB2_209:                              ;   in Loop: Header=BB2_67 Depth=2
	s_andn2_saveexec_b64 s[18:19], s[48:49]
; %bb.210:                              ;   in Loop: Header=BB2_67 Depth=2
	v_or_b32_sdwa v2, v32, s68 dst_sel:DWORD dst_unused:UNUSED_PAD src0_sel:BYTE_3 src1_sel:DWORD
	v_cmp_eq_u64_e32 vcc, 0, v[4:5]
	v_cndmask_b32_e32 v31, v2, v31, vcc
; %bb.211:                              ;   in Loop: Header=BB2_67 Depth=2
	s_or_b64 exec, exec, s[18:19]
	v_cmp_lt_u32_e32 vcc, s37, v54
	v_mov_b32_e32 v4, 0
	s_and_saveexec_b64 s[18:19], vcc
	s_cbranch_execz .LBB2_219
; %bb.212:                              ;   in Loop: Header=BB2_67 Depth=2
	v_lshrrev_b32_e32 v2, 24, v54
	v_cmp_ne_u32_e32 vcc, s66, v2
	v_bfrev_b32_e32 v4, 1
	s_and_saveexec_b64 s[48:49], vcc
	s_cbranch_execz .LBB2_218
; %bb.213:                              ;   in Loop: Header=BB2_67 Depth=2
	v_and_b32_e32 v4, 0x7c000000, v54
	v_bfe_u32 v5, v54, 24, 2
	v_cmp_ne_u32_e32 vcc, s70, v4
                                        ; implicit-def: $vgpr4
	s_and_saveexec_b64 s[50:51], vcc
	s_xor_b64 s[50:51], exec, s[50:51]
	s_cbranch_execz .LBB2_215
; %bb.214:                              ;   in Loop: Header=BB2_67 Depth=2
	v_ffbh_u32_e32 v32, v5
	v_min_u32_e32 v36, 32, v32
	v_bfe_u32 v4, v54, 26, 5
	v_subrev_u32_e32 v32, 29, v36
	v_lshlrev_b64 v[32:33], v32, v[2:3]
	v_sub_u32_e32 v2, 30, v36
	v_cmp_eq_u32_e32 vcc, 0, v4
	v_cndmask_b32_e32 v2, v4, v2, vcc
	v_and_b32_e32 v32, 3, v32
	v_lshl_add_u32 v2, v2, 23, v7
	v_cndmask_b32_e32 v4, v5, v32, vcc
	v_and_or_b32 v2, v54, s65, v2
	v_lshl_or_b32 v4, v4, 21, v2
                                        ; implicit-def: $vgpr5
.LBB2_215:                              ;   in Loop: Header=BB2_67 Depth=2
	s_andn2_saveexec_b64 s[50:51], s[50:51]
; %bb.216:                              ;   in Loop: Header=BB2_67 Depth=2
	v_cmp_lt_i32_e32 vcc, -1, v54
	v_cndmask_b32_e32 v2, v24, v25, vcc
	v_cmp_eq_u32_e32 vcc, 0, v5
	v_cndmask_b32_e32 v4, v6, v2, vcc
; %bb.217:                              ;   in Loop: Header=BB2_67 Depth=2
	s_or_b64 exec, exec, s[50:51]
.LBB2_218:                              ;   in Loop: Header=BB2_67 Depth=2
	s_or_b64 exec, exec, s[48:49]
.LBB2_219:                              ;   in Loop: Header=BB2_67 Depth=2
	s_or_b64 exec, exec, s[18:19]
	v_mul_f32_e32 v5, v62, v4
	v_and_b32_sdwa v2, v5, s66 dst_sel:DWORD dst_unused:UNUSED_PAD src0_sel:BYTE_3 src1_sel:DWORD
	v_and_b32_e32 v32, 0x7f800000, v5
	v_mov_b32_e32 v33, v55
	v_and_b32_e32 v54, 0x7fffff, v5
	v_or_b32_e32 v4, 0x7b, v2
	v_cmp_ne_u64_e32 vcc, s[38:39], v[32:33]
	s_and_saveexec_b64 s[18:19], vcc
	s_xor_b64 s[48:49], exec, s[18:19]
	s_cbranch_execz .LBB2_229
; %bb.220:                              ;   in Loop: Header=BB2_67 Depth=2
	v_and_b32_e32 v32, 0x7fffffff, v5
	v_mov_b32_e32 v33, v55
	v_cmp_gt_u64_e32 vcc, s[40:41], v[32:33]
	s_and_saveexec_b64 s[50:51], vcc
	s_cbranch_execz .LBB2_228
; %bb.221:                              ;   in Loop: Header=BB2_67 Depth=2
	v_cmp_ne_u32_e32 vcc, 0, v5
	v_mov_b32_e32 v4, 0
	s_and_saveexec_b64 s[52:53], vcc
	s_cbranch_execz .LBB2_227
; %bb.222:                              ;   in Loop: Header=BB2_67 Depth=2
	v_bfe_u32 v4, v5, 23, 8
	v_sub_u32_e32 v32, 0x71, v4
	v_cmp_gt_u32_e32 vcc, s67, v4
	v_cndmask_b32_e32 v32, 0, v32, vcc
	v_cmp_eq_u32_e32 vcc, 0, v4
	v_or_b32_e32 v33, 0x800000, v54
	v_cndmask_b32_e32 v32, v32, v49, vcc
	v_add_u32_e32 v5, 0xffffff81, v4
	v_cndmask_b32_e32 v54, v33, v54, vcc
	v_add_u32_e32 v4, 21, v32
	v_cndmask_b32_e32 v36, v5, v48, vcc
	v_lshlrev_b64 v[4:5], v4, -1
	v_add_u32_e32 v33, 20, v32
	v_lshrrev_b64 v[44:45], v32, v[54:55]
	v_not_b32_e32 v5, v5
	v_not_b32_e32 v4, v4
	v_lshlrev_b64 v[40:41], v33, 1
	v_lshrrev_b32_e32 v33, 23, v44
	v_and_b32_e32 v5, 0, v5
	v_and_b32_e32 v4, v54, v4
	v_add3_u32 v36, v32, v36, v33
	v_bfe_u32 v32, v44, 21, 1
	v_add_u32_e32 v32, -1, v32
	v_cmp_eq_u64_e32 vcc, v[4:5], v[40:41]
	v_cndmask_b32_e32 v4, 0, v32, vcc
	v_add_u32_e32 v4, v4, v44
	v_and_b32_e32 v4, 0x1fffff, v4
	v_add_co_u32_e32 v4, vcc, v4, v44
	v_add_u32_e32 v33, 14, v36
	v_addc_co_u32_e32 v5, vcc, 0, v45, vcc
	v_cmp_ne_u32_e32 vcc, 0, v33
                                        ; implicit-def: $vgpr32
	s_and_saveexec_b64 s[18:19], vcc
	s_xor_b64 s[18:19], exec, s[18:19]
; %bb.223:                              ;   in Loop: Header=BB2_67 Depth=2
	v_add_u32_e32 v32, 15, v36
	v_cmp_lt_u64_e32 vcc, s[42:43], v[4:5]
	v_cndmask_b32_e32 v32, v33, v32, vcc
	v_cndmask_b32_e64 v33, 0, 1, vcc
	v_lshrrev_b64 v[4:5], v33, v[4:5]
; %bb.224:                              ;   in Loop: Header=BB2_67 Depth=2
	s_andn2_saveexec_b64 s[18:19], s[18:19]
; %bb.225:                              ;   in Loop: Header=BB2_67 Depth=2
	v_bfe_u32 v32, v4, 23, 1
; %bb.226:                              ;   in Loop: Header=BB2_67 Depth=2
	s_or_b64 exec, exec, s[18:19]
	v_lshrrev_b64 v[4:5], 21, v[4:5]
	v_cmp_gt_i32_e32 vcc, 32, v32
	v_cndmask_b32_e32 v5, 0, v5, vcc
	v_cndmask_b32_e32 v4, 3, v4, vcc
	v_cmp_eq_u64_e64 s[18:19], 0, v[4:5]
	v_min_i32_e32 v5, 31, v32
	v_lshlrev_b32_e32 v5, 2, v5
	v_cmp_eq_u32_e32 vcc, 0, v32
	v_and_b32_e32 v5, 0xfc, v5
	v_and_or_b32 v4, v4, 3, v5
	s_and_b64 s[18:19], vcc, s[18:19]
	v_cndmask_b32_e64 v4, v4, 0, s[18:19]
	v_accvgpr_read_b32 v51, a11
	v_accvgpr_read_b32 v44, a48
	v_or_b32_e32 v4, v4, v2
	v_accvgpr_read_b32 v50, a10
	v_accvgpr_read_b32 v45, a49
.LBB2_227:                              ;   in Loop: Header=BB2_67 Depth=2
	s_or_b64 exec, exec, s[52:53]
.LBB2_228:                              ;   in Loop: Header=BB2_67 Depth=2
	s_or_b64 exec, exec, s[50:51]
                                        ; implicit-def: $vgpr5
.LBB2_229:                              ;   in Loop: Header=BB2_67 Depth=2
	s_andn2_saveexec_b64 s[18:19], s[48:49]
	s_cbranch_execz .LBB2_66
; %bb.230:                              ;   in Loop: Header=BB2_67 Depth=2
	v_or_b32_sdwa v2, v5, s68 dst_sel:DWORD dst_unused:UNUSED_PAD src0_sel:BYTE_3 src1_sel:DWORD
	v_cmp_eq_u64_e32 vcc, 0, v[54:55]
	v_cndmask_b32_e32 v4, v2, v4, vcc
	s_branch .LBB2_66
.LBB2_231:                              ;   in Loop: Header=BB2_29 Depth=1
	s_or_b64 exec, exec, s[46:47]
	v_accvgpr_read_b32 v8, a30
	v_accvgpr_read_b32 v9, a31
.LBB2_232:                              ;   in Loop: Header=BB2_29 Depth=1
	s_or_b64 exec, exec, s[44:45]
	v_and_b32_e32 v54, 0x7ffffff8, v16
	v_cmp_eq_u64_e32 vcc, s[34:35], v[54:55]
	v_cmp_gt_i32_e64 s[18:19], s60, v0
	s_and_b64 s[18:19], vcc, s[18:19]
	s_and_saveexec_b64 s[44:45], s[18:19]
	s_cbranch_execz .LBB2_235
; %bb.233:                              ;   in Loop: Header=BB2_29 Depth=1
	v_mul_lo_u32 v4, v1, s60
	v_mov_b32_e32 v1, v16
	s_waitcnt vmcnt(0) lgkmcnt(0)
	v_add_co_u32_e64 v2, vcc, 0, 0
	v_ashrrev_i32_e32 v5, 31, v4
	v_addc_co_u32_e32 v3, vcc, 1, v1, vcc
	v_ashrrev_i32_e32 v1, 31, v0
	v_lshlrev_b64 v[8:9], 4, v[0:1]
	v_lshlrev_b64 v[4:5], 4, v[4:5]
	v_add_co_u32_e32 v1, vcc, v8, v4
	v_addc_co_u32_e32 v4, vcc, v9, v5, vcc
	v_accvgpr_read_b32 v8, a24
	v_accvgpr_read_b32 v9, a25
	v_add_co_u32_e32 v10, vcc, v8, v1
	v_addc_co_u32_e32 v11, vcc, v9, v4, vcc
	v_accvgpr_read_b32 v8, a30
	v_accvgpr_read_b32 v9, a31
	s_mov_b64 s[46:47], 0
.LBB2_234:                              ;   Parent Loop BB2_29 Depth=1
                                        ; =>  This Inner Loop Header: Depth=2
	v_mov_b32_e32 v4, v2
	v_mov_b32_e32 v5, v3
	v_add_u32_e32 v0, v0, v20
	global_store_dwordx4 v[10:11], v[2:5], off
	v_cmp_le_i32_e32 vcc, s60, v0
	v_add_co_u32_e64 v10, s[18:19], v10, v58
	s_or_b64 s[46:47], vcc, s[46:47]
	v_addc_co_u32_e64 v11, vcc, v11, v59, s[18:19]
	s_andn2_b64 exec, exec, s[46:47]
	s_cbranch_execnz .LBB2_234
.LBB2_235:                              ;   in Loop: Header=BB2_29 Depth=1
	s_or_b64 exec, exec, s[44:45]
	v_accvgpr_read_b32 v0, a8
	v_accvgpr_read_b32 v1, a9
	s_waitcnt vmcnt(0) lgkmcnt(0)
	v_add_co_u32_e32 v2, vcc, v44, v0
	v_addc_co_u32_e32 v1, vcc, v45, v1, vcc
	v_add_co_u32_e64 v28, s[18:19], 1, v16
	s_andn2_b64 vcc, exec, s[30:31]
	v_addc_co_u32_e64 v29, s[18:19], 0, v17, s[18:19]
	s_cbranch_vccnz .LBB2_701
; %bb.236:                              ;   in Loop: Header=BB2_29 Depth=1
	v_accvgpr_read_b32 v0, a37
	v_accvgpr_write_b32 a51, v2
	v_add_co_u32_e32 v2, vcc, v0, v2
	v_accvgpr_read_b32 v0, a39
	v_addc_co_u32_e32 v3, vcc, v0, v1, vcc
	v_accvgpr_write_b32 a55, v3
	v_accvgpr_write_b32 a52, v1
	;; [unrolled: 1-line block ×3, first 2 shown]
	v_add_u16_e32 v8, 1, v16
	s_mov_b32 s76, 2
	s_branch .LBB2_238
.LBB2_237:                              ;   in Loop: Header=BB2_238 Depth=2
	s_or_b64 exec, exec, s[44:45]
	v_add_co_u32_e32 v34, vcc, 1, v34
	v_addc_co_u32_e32 v35, vcc, 0, v35, vcc
	s_add_i32 s76, s76, 1
	v_add_co_u32_e32 v28, vcc, 1, v28
	v_addc_co_u32_e32 v29, vcc, 0, v29, vcc
	s_cmp_eq_u32 s76, s20
	v_add_u16_e32 v8, 1, v8
	s_cbranch_scc1 .LBB2_702
.LBB2_238:                              ;   Parent Loop BB2_29 Depth=1
                                        ; =>  This Loop Header: Depth=2
                                        ;       Child Loop BB2_253 Depth 3
                                        ;       Child Loop BB2_269 Depth 3
	;; [unrolled: 1-line block ×3, first 2 shown]
                                        ;         Child Loop BB2_290 Depth 4
                                        ;       Child Loop BB2_690 Depth 3
                                        ;       Child Loop BB2_246 Depth 3
	s_sub_i32 s18, s20, s76
	s_ashr_i32 s19, s18, 31
	s_lshl_b64 s[18:19], s[18:19], 2
	s_waitcnt vmcnt(0) lgkmcnt(0)
	v_accvgpr_read_b32 v2, a6
	v_mov_b32_e32 v1, s19
	v_accvgpr_read_b32 v3, a7
	v_add_co_u32_e32 v0, vcc, s18, v2
	v_addc_co_u32_e32 v1, vcc, v3, v1, vcc
	flat_load_dword v2, v[0:1]
	s_and_saveexec_b64 s[18:19], s[6:7]
	s_cbranch_execnz .LBB2_247
; %bb.239:                              ;   in Loop: Header=BB2_238 Depth=2
	s_or_b64 exec, exec, s[18:19]
	s_and_saveexec_b64 s[18:19], s[10:11]
	s_cbranch_execnz .LBB2_262
.LBB2_240:                              ;   in Loop: Header=BB2_238 Depth=2
	s_or_b64 exec, exec, s[18:19]
	v_accvgpr_read_b32 v0, a2
	s_and_saveexec_b64 s[44:45], s[16:17]
	s_cbranch_execnz .LBB2_280
.LBB2_241:                              ;   in Loop: Header=BB2_238 Depth=2
	s_or_b64 exec, exec, s[44:45]
	s_and_saveexec_b64 s[18:19], s[10:11]
	s_cbranch_execnz .LBB2_683
.LBB2_242:                              ;   in Loop: Header=BB2_238 Depth=2
	s_or_b64 exec, exec, s[18:19]
	s_and_saveexec_b64 s[18:19], s[14:15]
	s_cbranch_execz .LBB2_244
.LBB2_243:                              ;   in Loop: Header=BB2_238 Depth=2
	s_waitcnt vmcnt(0) lgkmcnt(0)
	v_accvgpr_read_b32 v2, a26
	v_accvgpr_read_b32 v3, a27
	v_add_co_u32_e32 v2, vcc, 1, v2
	v_addc_co_u32_e32 v3, vcc, 0, v3, vcc
	v_accvgpr_write_b32 a27, v3
	v_accvgpr_read_b32 v4, a28
	v_accvgpr_write_b32 a26, v2
	v_accvgpr_read_b32 v5, a29
	flat_store_dwordx2 v[4:5], v[2:3]
.LBB2_244:                              ;   in Loop: Header=BB2_238 Depth=2
	s_or_b64 exec, exec, s[18:19]
	v_and_b32_e32 v54, 0x7ffffff8, v28
	v_cmp_eq_u64_e32 vcc, s[34:35], v[54:55]
	v_cmp_gt_i32_e64 s[18:19], s60, v0
	s_and_b64 s[18:19], vcc, s[18:19]
	s_and_saveexec_b64 s[44:45], s[18:19]
	s_cbranch_execz .LBB2_237
; %bb.245:                              ;   in Loop: Header=BB2_238 Depth=2
	v_and_b32_e32 v1, 7, v8
	s_waitcnt vmcnt(0) lgkmcnt(0)
	v_mul_lo_u32 v2, s60, v1
	v_ashrrev_i32_e32 v3, 31, v2
	v_lshlrev_b64 v[4:5], 4, v[2:3]
	v_mov_b32_e32 v1, v28
	v_add_co_u32_e64 v2, vcc, 0, 0
	v_addc_co_u32_e32 v3, vcc, 1, v1, vcc
	v_ashrrev_i32_e32 v1, 31, v0
	v_lshlrev_b64 v[10:11], 4, v[0:1]
	v_add_co_u32_e32 v1, vcc, v10, v4
	v_addc_co_u32_e32 v4, vcc, v11, v5, vcc
	v_accvgpr_read_b32 v10, a24
	v_accvgpr_read_b32 v11, a25
	v_add_co_u32_e32 v10, vcc, v10, v1
	v_addc_co_u32_e32 v11, vcc, v11, v4, vcc
	s_mov_b64 s[46:47], 0
.LBB2_246:                              ;   Parent Loop BB2_29 Depth=1
                                        ;     Parent Loop BB2_238 Depth=2
                                        ; =>    This Inner Loop Header: Depth=3
	v_mov_b32_e32 v4, v2
	v_mov_b32_e32 v5, v3
	v_add_u32_e32 v0, v0, v20
	global_store_dwordx4 v[10:11], v[2:5], off
	v_cmp_le_i32_e32 vcc, s60, v0
	v_add_co_u32_e64 v10, s[18:19], v10, v58
	s_or_b64 s[46:47], vcc, s[46:47]
	v_addc_co_u32_e64 v11, vcc, v11, v59, s[18:19]
	s_andn2_b64 exec, exec, s[46:47]
	s_cbranch_execnz .LBB2_246
	s_branch .LBB2_237
.LBB2_247:                              ;   in Loop: Header=BB2_238 Depth=2
	v_accvgpr_read_b32 v10, a20
	v_accvgpr_read_b32 v12, a22
	;; [unrolled: 1-line block ×3, first 2 shown]
	v_add_co_u32_e32 v0, vcc, 1, v12
	v_addc_co_u32_e32 v1, vcc, 0, v13, vcc
	v_add_co_u32_e32 v4, vcc, 8, v52
	v_addc_co_u32_e32 v5, vcc, 0, v53, vcc
	v_cmp_lt_u64_e32 vcc, v[4:5], v[0:1]
	v_accvgpr_read_b32 v11, a21
	s_and_saveexec_b64 s[44:45], vcc
	s_cbranch_execz .LBB2_259
; %bb.248:                              ;   in Loop: Header=BB2_238 Depth=2
	s_sleep 1
	flat_load_dwordx2 v[52:53], v[50:51] glc
	v_cmp_eq_u32_e32 vcc, 0, v30
	s_and_saveexec_b64 s[46:47], vcc
	s_cbranch_execz .LBB2_258
; %bb.249:                              ;   in Loop: Header=BB2_238 Depth=2
	v_cndmask_b32_e64 v3, 0, 1, vcc
	s_mov_b64 s[48:49], 0
                                        ; implicit-def: $sgpr50_sgpr51
	s_branch .LBB2_253
.LBB2_250:                              ;   in Loop: Header=BB2_253 Depth=3
	s_or_b64 exec, exec, s[58:59]
	s_orn2_b64 s[56:57], s[56:57], exec
.LBB2_251:                              ;   in Loop: Header=BB2_253 Depth=3
	s_or_b64 exec, exec, s[54:55]
	s_xor_b64 vcc, s[56:57], -1
	s_andn2_b64 s[50:51], s[50:51], exec
	s_and_b64 vcc, vcc, exec
	s_or_b64 s[50:51], s[50:51], vcc
.LBB2_252:                              ;   in Loop: Header=BB2_253 Depth=3
	s_or_b64 exec, exec, s[52:53]
	s_and_b64 vcc, exec, s[50:51]
	s_or_b64 s[48:49], vcc, s[48:49]
	s_andn2_b64 exec, exec, s[48:49]
	s_cbranch_execz .LBB2_257
.LBB2_253:                              ;   Parent Loop BB2_29 Depth=1
                                        ;     Parent Loop BB2_238 Depth=2
                                        ; =>    This Inner Loop Header: Depth=3
	s_waitcnt vmcnt(0) lgkmcnt(0)
	v_add_co_u32_e32 v4, vcc, 8, v52
	v_addc_co_u32_e32 v5, vcc, 0, v53, vcc
	v_cmp_lt_u64_e32 vcc, v[4:5], v[0:1]
	v_mov_b32_e32 v30, 0
	s_or_b64 s[50:51], s[50:51], exec
	s_and_saveexec_b64 s[52:53], vcc
	s_cbranch_execz .LBB2_252
; %bb.254:                              ;   in Loop: Header=BB2_253 Depth=3
	s_sleep 1
	flat_load_dwordx2 v[52:53], v[50:51] glc
	v_add_u32_e32 v3, 1, v3
	v_cmp_eq_u32_e32 vcc, s61, v3
	s_mov_b64 s[56:57], -1
	v_mov_b32_e32 v30, 0
	s_and_saveexec_b64 s[54:55], vcc
	s_cbranch_execz .LBB2_251
; %bb.255:                              ;   in Loop: Header=BB2_253 Depth=3
	s_trap 2
	ds_read_b64 v[4:5], v0
	v_mov_b32_e32 v3, 0
	v_mov_b32_e32 v30, 0
	s_waitcnt vmcnt(0) lgkmcnt(0)
	flat_load_dword v4, v[4:5] glc
	s_waitcnt vmcnt(0) lgkmcnt(0)
	buffer_invl2
	buffer_wbinvl1_vol
	v_cmp_ne_u32_e32 vcc, 0, v4
	s_and_saveexec_b64 s[58:59], vcc
	s_cbranch_execz .LBB2_250
; %bb.256:                              ;   in Loop: Header=BB2_253 Depth=3
	v_mov_b32_e32 v30, 1
	s_xor_b64 s[56:57], exec, -1
	ds_write_b32 v0, v4
	s_trap 2
	s_branch .LBB2_250
.LBB2_257:                              ;   in Loop: Header=BB2_238 Depth=2
	s_or_b64 exec, exec, s[48:49]
.LBB2_258:                              ;   in Loop: Header=BB2_238 Depth=2
	s_or_b64 exec, exec, s[46:47]
.LBB2_259:                              ;   in Loop: Header=BB2_238 Depth=2
	s_or_b64 exec, exec, s[44:45]
	s_and_saveexec_b64 s[44:45], s[8:9]
	s_cbranch_execz .LBB2_261
; %bb.260:                              ;   in Loop: Header=BB2_238 Depth=2
	v_accvgpr_read_b32 v10, a20
	v_accvgpr_read_b32 v12, a22
	v_and_b32_e32 v54, 0x7ffffff8, v12
	v_mov_b32_e32 v3, s21
	v_cmp_eq_u64_e32 vcc, s[34:35], v[54:55]
	v_accvgpr_read_b32 v4, a50
	v_accvgpr_read_b32 v11, a21
	v_cndmask_b32_e32 v4, v4, v3, vcc
	v_and_b32_e32 v3, 7, v12
	v_ashrrev_i32_e32 v5, 31, v4
	v_mad_u64_u32 v[10:11], vcc, v3, 24, v[10:11]
	flat_store_dwordx2 v[10:11], v[4:5] offset:8
	s_waitcnt vmcnt(0)
.LBB2_261:                              ;   in Loop: Header=BB2_238 Depth=2
	s_or_b64 exec, exec, s[44:45]
	v_accvgpr_write_b32 a23, v1
	v_accvgpr_write_b32 a22, v0
	s_or_b64 exec, exec, s[18:19]
	s_and_saveexec_b64 s[18:19], s[10:11]
	s_cbranch_execz .LBB2_240
.LBB2_262:                              ;   in Loop: Header=BB2_238 Depth=2
	s_and_saveexec_b64 vcc, s[28:29]
	s_xor_b64 s[44:45], exec, vcc
	s_cbranch_execz .LBB2_277
; %bb.263:                              ;   in Loop: Header=BB2_238 Depth=2
	s_and_saveexec_b64 s[46:47], s[12:13]
	s_cbranch_execz .LBB2_276
; %bb.264:                              ;   in Loop: Header=BB2_238 Depth=2
	s_mov_b64 s[50:51], exec
	v_mbcnt_lo_u32_b32 v0, s50, 0
	v_mbcnt_hi_u32_b32 v0, s51, v0
	v_cmp_eq_u32_e32 vcc, 0, v0
	s_waitcnt vmcnt(0) lgkmcnt(0)
	buffer_wbinvl1_vol
	s_and_saveexec_b64 s[48:49], vcc
	s_cbranch_execz .LBB2_266
; %bb.265:                              ;   in Loop: Header=BB2_238 Depth=2
	s_bcnt1_i32_b64 vcc_lo, s[50:51]
	v_mov_b32_e32 v54, vcc_lo
	ds_add_u64 v0, v[54:55]
	s_trap 2
.LBB2_266:                              ;   in Loop: Header=BB2_238 Depth=2
	s_or_b64 exec, exec, s[48:49]
	s_trap 2
	ds_read_b64 v[0:1], v0
	v_accvgpr_read_b32 v4, a36
	v_add_co_u32_e32 v42, vcc, v42, v4
	v_accvgpr_read_b32 v3, a47
	v_addc_co_u32_e32 v43, vcc, v43, v3, vcc
	s_waitcnt lgkmcnt(0)
	v_cmp_lt_u64_e32 vcc, v[0:1], v[42:43]
	s_and_saveexec_b64 s[48:49], vcc
	s_cbranch_execz .LBB2_275
; %bb.267:                              ;   in Loop: Header=BB2_238 Depth=2
	s_mov_b32 s77, 0
	s_mov_b64 s[50:51], 0
                                        ; implicit-def: $sgpr52_sgpr53
                                        ; implicit-def: $sgpr54_sgpr55
	s_branch .LBB2_269
.LBB2_268:                              ;   in Loop: Header=BB2_269 Depth=3
	s_or_b64 exec, exec, s[58:59]
	s_and_b64 vcc, exec, vcc
	s_or_b64 s[50:51], vcc, s[50:51]
	s_andn2_b64 vcc, s[52:53], exec
	s_and_b64 s[52:53], s[54:55], exec
	s_or_b64 s[52:53], vcc, s[52:53]
	s_andn2_b64 exec, exec, s[50:51]
	s_cbranch_execz .LBB2_273
.LBB2_269:                              ;   Parent Loop BB2_29 Depth=1
                                        ;     Parent Loop BB2_238 Depth=2
                                        ; =>    This Inner Loop Header: Depth=3
	s_add_i32 s77, s77, 1
	s_cmpk_lg_i32 s77, 0x2710
	s_cselect_b64 s[56:57], -1, 0
	s_and_b64 vcc, exec, s[56:57]
                                        ; implicit-def: $sgpr58_sgpr59
	s_cbranch_vccnz .LBB2_271
; %bb.270:                              ;   in Loop: Header=BB2_269 Depth=3
	s_trap 2
	ds_read_b64 v[0:1], v0
	s_andn2_b64 s[56:57], s[56:57], exec
	s_mov_b32 s77, 0
	s_mov_b64 s[58:59], -1
	s_waitcnt lgkmcnt(0)
	flat_load_dword v0, v[0:1] glc
	s_waitcnt vmcnt(0) lgkmcnt(0)
	buffer_invl2
	buffer_wbinvl1_vol
	v_cmp_eq_u32_e32 vcc, 0, v0
	s_and_b64 vcc, vcc, exec
	s_or_b64 s[56:57], s[56:57], vcc
.LBB2_271:                              ;   in Loop: Header=BB2_269 Depth=3
	s_andn2_b64 s[54:55], s[54:55], exec
	s_and_b64 s[58:59], s[58:59], exec
	s_mov_b64 vcc, -1
	s_or_b64 s[54:55], s[54:55], s[58:59]
	s_and_saveexec_b64 s[58:59], s[56:57]
	s_cbranch_execz .LBB2_268
; %bb.272:                              ;   in Loop: Header=BB2_269 Depth=3
	s_sleep 1
	s_trap 2
	ds_read_b64 v[0:1], v0
	s_andn2_b64 s[54:55], s[54:55], exec
	s_waitcnt lgkmcnt(0)
	v_cmp_ge_u64_e32 vcc, v[0:1], v[42:43]
	s_orn2_b64 vcc, vcc, exec
	s_branch .LBB2_268
.LBB2_273:                              ;   in Loop: Header=BB2_238 Depth=2
	s_or_b64 exec, exec, s[50:51]
	s_and_saveexec_b64 vcc, s[52:53]
	s_xor_b64 vcc, exec, vcc
	s_cbranch_execz .LBB2_275
; %bb.274:                              ;   in Loop: Header=BB2_238 Depth=2
	v_mov_b32_e32 v0, 1
	ds_write_b32 v0, v0
	s_trap 2
.LBB2_275:                              ;   in Loop: Header=BB2_238 Depth=2
	s_or_b64 exec, exec, s[48:49]
	;;#ASMSTART
	s_wakeup
	;;#ASMEND
.LBB2_276:                              ;   in Loop: Header=BB2_238 Depth=2
	s_or_b64 exec, exec, s[46:47]
.LBB2_277:                              ;   in Loop: Header=BB2_238 Depth=2
	s_andn2_saveexec_b64 vcc, s[44:45]
	s_cbranch_execz .LBB2_279
; %bb.278:                              ;   in Loop: Header=BB2_238 Depth=2
	s_waitcnt vmcnt(0) lgkmcnt(0)
	buffer_wbinvl1_vol
	s_barrier
.LBB2_279:                              ;   in Loop: Header=BB2_238 Depth=2
	s_or_b64 exec, exec, vcc
	s_or_b64 exec, exec, s[18:19]
	v_accvgpr_read_b32 v0, a2
	s_and_saveexec_b64 s[44:45], s[16:17]
	s_cbranch_execz .LBB2_241
.LBB2_280:                              ;   in Loop: Header=BB2_238 Depth=2
	v_accvgpr_read_b32 v4, a54
	s_waitcnt vmcnt(0) lgkmcnt(0)
	v_ashrrev_i32_e32 v0, 31, v2
	v_accvgpr_read_b32 v3, a3
	v_accvgpr_read_b32 v5, a55
	;; [unrolled: 1-line block ×3, first 2 shown]
	v_mad_u64_u32 v[44:45], s[18:19], v3, v2, v[4:5]
	v_mul_lo_u32 v1, v1, v2
	v_mul_lo_u32 v0, v3, v0
	v_add3_u32 v45, v1, v45, v0
	v_and_b32_e32 v0, 7, v34
	v_mul_lo_u32 v0, v0, s60
	v_ashrrev_i32_e32 v1, 31, v0
	v_lshlrev_b64 v[0:1], 4, v[0:1]
	v_accvgpr_read_b32 v2, a18
	v_add_co_u32_e32 v9, vcc, v2, v0
	v_and_b32_e32 v0, 7, v28
	v_accvgpr_read_b32 v3, a19
	v_mul_lo_u32 v0, v0, s60
	v_addc_co_u32_e32 v32, vcc, v3, v1, vcc
	v_ashrrev_i32_e32 v1, 31, v0
	v_lshlrev_b64 v[0:1], 4, v[0:1]
	v_accvgpr_read_b32 v2, a24
	v_accvgpr_read_b32 v3, a25
	v_add_co_u32_e32 v60, vcc, v2, v0
	v_addc_co_u32_e32 v61, vcc, v3, v1, vcc
	v_mov_b32_e32 v1, v28
	v_add_co_u32_e64 v31, vcc, 0, 0
	v_add_u32_e32 v33, 1, v34
	v_addc_co_u32_e32 v3, vcc, 1, v1, vcc
	s_mov_b64 s[46:47], 0
	v_mov_b32_e32 v21, v46
	v_accvgpr_read_b32 v0, a2
	s_branch .LBB2_282
.LBB2_281:                              ;   in Loop: Header=BB2_282 Depth=3
	s_or_b64 exec, exec, s[18:19]
	v_lshlrev_b32_e32 v11, 8, v40
	v_add_co_u32_e32 v44, vcc, v44, v56
	v_perm_b32 v12, v11, v17, s71
	v_lshlrev_b32_e32 v11, 8, v26
	v_addc_co_u32_e32 v45, vcc, v45, v57, vcc
	v_lshlrev_b32_e32 v13, 24, v10
	v_perm_b32 v10, v11, v19, s71
	v_and_b32_e32 v2, 0xff, v23
	v_lshl_or_b32 v1, v1, 16, v10
	v_add_co_u32_e32 v10, vcc, v60, v4
	v_lshlrev_b32_e32 v2, 16, v2
	v_addc_co_u32_e32 v11, vcc, v61, v5, vcc
	v_sub_u32_e32 v21, v21, v56
	v_lshl_or_b32 v2, v16, 24, v2
	v_cmp_gt_i32_e32 vcc, 1, v21
	v_or3_b32 v2, v2, v12, v31
	v_or3_b32 v4, v13, v1, v31
	v_mov_b32_e32 v5, v3
	s_or_b64 s[46:47], vcc, s[46:47]
	v_add_u32_e32 v0, v0, v20
	global_store_dwordx4 v[10:11], v[2:5], off
	s_andn2_b64 exec, exec, s[46:47]
	s_cbranch_execz .LBB2_682
.LBB2_282:                              ;   Parent Loop BB2_29 Depth=1
                                        ;     Parent Loop BB2_238 Depth=2
                                        ; =>    This Loop Header: Depth=3
                                        ;         Child Loop BB2_290 Depth 4
	v_and_b32_e32 v4, -4, v44
	v_mov_b32_e32 v5, v45
	global_load_dword v2, v[4:5], off glc slc
	v_min_u32_e32 v1, 8, v21
	v_and_b32_e32 v10, 3, v44
	v_add_co_u32_e32 v10, vcc, v10, v1
	v_addc_co_u32_e64 v11, s[18:19], 0, 0, vcc
	v_mov_b32_e32 v22, 0
	v_cmp_lt_u64_e32 vcc, 4, v[10:11]
	v_mov_b32_e32 v23, 0
	s_and_saveexec_b64 s[18:19], vcc
	s_cbranch_execz .LBB2_284
; %bb.283:                              ;   in Loop: Header=BB2_282 Depth=3
	global_load_dword v23, v[4:5], off offset:4 glc slc
.LBB2_284:                              ;   in Loop: Header=BB2_282 Depth=3
	s_or_b64 exec, exec, s[18:19]
	v_cmp_lt_u64_e32 vcc, 8, v[10:11]
	s_and_saveexec_b64 s[18:19], vcc
	s_cbranch_execz .LBB2_286
; %bb.285:                              ;   in Loop: Header=BB2_282 Depth=3
	global_load_dword v22, v[4:5], off offset:8 glc slc
.LBB2_286:                              ;   in Loop: Header=BB2_282 Depth=3
	s_or_b64 exec, exec, s[18:19]
	v_ashrrev_i32_e32 v1, 31, v0
	v_lshlrev_b64 v[4:5], 4, v[0:1]
	v_add_co_u32_e32 v10, vcc, v9, v4
	v_addc_co_u32_e32 v11, vcc, v32, v5, vcc
	global_load_dwordx4 v[16:19], v[10:11], off glc slc
	v_cmp_eq_u32_e32 vcc, 0, v30
	s_and_saveexec_b64 s[48:49], vcc
	s_cbranch_execz .LBB2_298
; %bb.287:                              ;   in Loop: Header=BB2_282 Depth=3
	s_waitcnt vmcnt(0)
	v_cmp_ne_u32_e32 vcc, v33, v17
	v_cmp_ne_u32_e64 s[18:19], v33, v19
	s_or_b64 s[18:19], vcc, s[18:19]
	v_mov_b32_e32 v30, 0
	s_and_saveexec_b64 s[50:51], s[18:19]
	s_cbranch_execz .LBB2_297
; %bb.288:                              ;   in Loop: Header=BB2_282 Depth=3
	s_mov_b32 s56, 1
	s_mov_b64 s[52:53], 0
	v_mov_b32_e32 v30, 0
	s_branch .LBB2_290
.LBB2_289:                              ;   in Loop: Header=BB2_290 Depth=4
	s_or_b64 exec, exec, s[54:55]
	s_and_b64 s[18:19], exec, s[18:19]
	s_or_b64 s[52:53], s[18:19], s[52:53]
	s_andn2_b64 exec, exec, s[52:53]
	s_cbranch_execz .LBB2_296
.LBB2_290:                              ;   Parent Loop BB2_29 Depth=1
                                        ;     Parent Loop BB2_238 Depth=2
                                        ;       Parent Loop BB2_282 Depth=3
                                        ; =>      This Inner Loop Header: Depth=4
	global_load_dwordx4 v[16:19], v[10:11], off glc slc
	s_add_i32 s56, s56, 1
	s_cmpk_lg_i32 s56, 0x2710
	s_cbranch_scc1 .LBB2_294
; %bb.291:                              ;   in Loop: Header=BB2_290 Depth=4
	s_trap 2
	ds_read_b64 v[26:27], v0
	s_waitcnt vmcnt(0) lgkmcnt(0)
	flat_load_dword v1, v[26:27] glc
	s_waitcnt vmcnt(0) lgkmcnt(0)
	buffer_invl2
	buffer_wbinvl1_vol
	v_cmp_ne_u32_e32 vcc, 0, v1
	s_and_saveexec_b64 s[18:19], vcc
	s_cbranch_execz .LBB2_293
; %bb.292:                              ;   in Loop: Header=BB2_290 Depth=4
	v_mov_b32_e32 v30, 1
	ds_write_b32 v0, v1
	s_trap 2
.LBB2_293:                              ;   in Loop: Header=BB2_290 Depth=4
	s_or_b64 exec, exec, s[18:19]
	s_mov_b32 s56, 0
	v_mov_b32_e32 v1, v30
	v_cmp_eq_u32_e32 vcc, 0, v1
	s_mov_b64 s[18:19], -1
	s_and_saveexec_b64 s[54:55], vcc
	s_cbranch_execz .LBB2_289
	s_branch .LBB2_295
.LBB2_294:                              ;   in Loop: Header=BB2_290 Depth=4
	v_mov_b32_e32 v1, 0
	v_cmp_eq_u32_e32 vcc, 0, v1
	s_mov_b64 s[18:19], -1
	s_and_saveexec_b64 s[54:55], vcc
	s_cbranch_execz .LBB2_289
.LBB2_295:                              ;   in Loop: Header=BB2_290 Depth=4
	s_waitcnt vmcnt(0)
	v_cmp_eq_u32_e32 vcc, v33, v17
	v_cmp_eq_u32_e64 s[18:19], v33, v19
	s_and_b64 s[18:19], vcc, s[18:19]
	s_orn2_b64 s[18:19], s[18:19], exec
	s_branch .LBB2_289
.LBB2_296:                              ;   in Loop: Header=BB2_282 Depth=3
	s_or_b64 exec, exec, s[52:53]
.LBB2_297:                              ;   in Loop: Header=BB2_282 Depth=3
	s_or_b64 exec, exec, s[50:51]
.LBB2_298:                              ;   in Loop: Header=BB2_282 Depth=3
	s_or_b64 exec, exec, s[48:49]
	v_lshlrev_b32_e32 v1, 3, v44
	s_waitcnt vmcnt(1)
	v_alignbit_b32 v54, v23, v2, v1
	v_cmp_ne_u16_sdwa vcc, v54, v55 src0_sel:BYTE_0 src1_sel:DWORD
	v_mov_b32_e32 v2, 0
	s_and_saveexec_b64 s[18:19], vcc
	s_cbranch_execz .LBB2_306
; %bb.299:                              ;   in Loop: Header=BB2_282 Depth=3
	v_cmp_ne_u16_sdwa vcc, sext(v54), s63 src0_sel:BYTE_0 src1_sel:DWORD
	v_bfrev_b32_e32 v2, 1
	s_and_saveexec_b64 s[48:49], vcc
	s_cbranch_execz .LBB2_305
; %bb.300:                              ;   in Loop: Header=BB2_282 Depth=3
	v_and_b32_e32 v2, 0x7c, v54
	v_and_b32_e32 v10, 3, v54
	v_cmp_ne_u32_e32 vcc, s64, v2
                                        ; implicit-def: $vgpr2
	s_and_saveexec_b64 s[50:51], vcc
	s_xor_b64 s[50:51], exec, s[50:51]
	s_cbranch_execz .LBB2_302
; %bb.301:                              ;   in Loop: Header=BB2_282 Depth=3
	v_ffbh_u32_e32 v11, v10
	v_bfe_u32 v2, v54, 2, 5
	v_min_u32_e32 v11, 32, v11
	v_subrev_u32_e32 v26, 29, v11
	v_sub_u32_e32 v11, 30, v11
	v_cmp_eq_u32_e32 vcc, 0, v2
	v_lshlrev_b64 v[26:27], v26, v[54:55]
	v_cndmask_b32_e32 v2, v2, v11, vcc
	v_and_b32_e32 v26, 3, v26
	v_lshlrev_b32_e32 v11, 24, v54
	v_lshl_add_u32 v2, v2, 23, v7
	v_cndmask_b32_e32 v10, v10, v26, vcc
	v_and_or_b32 v2, v11, s65, v2
	v_lshl_or_b32 v2, v10, 21, v2
                                        ; implicit-def: $vgpr10
.LBB2_302:                              ;   in Loop: Header=BB2_282 Depth=3
	s_andn2_saveexec_b64 s[50:51], s[50:51]
; %bb.303:                              ;   in Loop: Header=BB2_282 Depth=3
	v_cmp_gt_i16_sdwa vcc, sext(v54), v47 src0_sel:BYTE_0 src1_sel:DWORD
	v_cndmask_b32_e32 v2, v24, v25, vcc
	v_cmp_eq_u32_e32 vcc, 0, v10
	v_cndmask_b32_e32 v2, v6, v2, vcc
; %bb.304:                              ;   in Loop: Header=BB2_282 Depth=3
	s_or_b64 exec, exec, s[50:51]
.LBB2_305:                              ;   in Loop: Header=BB2_282 Depth=3
	s_or_b64 exec, exec, s[48:49]
.LBB2_306:                              ;   in Loop: Header=BB2_282 Depth=3
	s_or_b64 exec, exec, s[18:19]
	v_mul_f32_e32 v11, v62, v2
	v_and_b32_sdwa v2, v11, s66 dst_sel:DWORD dst_unused:UNUSED_PAD src0_sel:BYTE_3 src1_sel:DWORD
	v_and_b32_e32 v26, 0x7f800000, v11
	v_mov_b32_e32 v27, v55
	v_and_b32_e32 v40, 0x7fffff, v11
	v_mov_b32_e32 v41, v55
	v_or_b32_e32 v10, 0x7b, v2
	v_cmp_ne_u64_e32 vcc, s[38:39], v[26:27]
	s_and_saveexec_b64 s[18:19], vcc
	s_xor_b64 s[48:49], exec, s[18:19]
	s_cbranch_execz .LBB2_316
; %bb.307:                              ;   in Loop: Header=BB2_282 Depth=3
	v_and_b32_e32 v26, 0x7fffffff, v11
	v_mov_b32_e32 v27, v55
	v_cmp_gt_u64_e32 vcc, s[40:41], v[26:27]
	s_and_saveexec_b64 s[50:51], vcc
	s_cbranch_execz .LBB2_315
; %bb.308:                              ;   in Loop: Header=BB2_282 Depth=3
	v_cmp_ne_u32_e32 vcc, 0, v11
	v_mov_b32_e32 v10, 0
	s_and_saveexec_b64 s[52:53], vcc
	s_cbranch_execz .LBB2_314
; %bb.309:                              ;   in Loop: Header=BB2_282 Depth=3
	v_bfe_u32 v10, v11, 23, 8
	v_sub_u32_e32 v26, 0x71, v10
	v_cmp_gt_u32_e32 vcc, s67, v10
	v_cndmask_b32_e32 v26, 0, v26, vcc
	v_cmp_eq_u32_e32 vcc, 0, v10
	v_cndmask_b32_e32 v26, v26, v49, vcc
	v_add_u32_e32 v11, 0xffffff81, v10
	v_add_u32_e32 v10, 21, v26
	v_or_b32_e32 v27, 0x800000, v40
	v_cndmask_b32_e32 v36, v11, v48, vcc
	v_lshlrev_b64 v[10:11], v10, -1
	v_cndmask_b32_e32 v40, v27, v40, vcc
	v_not_b32_e32 v10, v10
	v_and_b32_e32 v10, v40, v10
	v_add_u32_e32 v27, 20, v26
	v_lshrrev_b64 v[40:41], v26, v[40:41]
	v_not_b32_e32 v11, v11
	v_lshlrev_b64 v[50:51], v27, 1
	v_lshrrev_b32_e32 v27, 23, v40
	v_and_b32_e32 v11, 0, v11
	v_add3_u32 v36, v26, v36, v27
	v_bfe_u32 v26, v40, 21, 1
	v_add_u32_e32 v26, -1, v26
	v_cmp_eq_u64_e32 vcc, v[10:11], v[50:51]
	v_cndmask_b32_e32 v10, 0, v26, vcc
	v_add_u32_e32 v10, v10, v40
	v_and_b32_e32 v10, 0x1fffff, v10
	v_add_co_u32_e32 v10, vcc, v10, v40
	v_add_u32_e32 v27, 14, v36
	v_addc_co_u32_e32 v11, vcc, 0, v41, vcc
	v_cmp_ne_u32_e32 vcc, 0, v27
                                        ; implicit-def: $vgpr26
	s_and_saveexec_b64 s[18:19], vcc
	s_xor_b64 s[18:19], exec, s[18:19]
; %bb.310:                              ;   in Loop: Header=BB2_282 Depth=3
	v_add_u32_e32 v26, 15, v36
	v_cmp_lt_u64_e32 vcc, s[42:43], v[10:11]
	v_cndmask_b32_e32 v26, v27, v26, vcc
	v_cndmask_b32_e64 v27, 0, 1, vcc
	v_lshrrev_b64 v[10:11], v27, v[10:11]
; %bb.311:                              ;   in Loop: Header=BB2_282 Depth=3
	s_andn2_saveexec_b64 s[18:19], s[18:19]
; %bb.312:                              ;   in Loop: Header=BB2_282 Depth=3
	v_bfe_u32 v26, v10, 23, 1
; %bb.313:                              ;   in Loop: Header=BB2_282 Depth=3
	s_or_b64 exec, exec, s[18:19]
	v_lshrrev_b64 v[10:11], 21, v[10:11]
	v_cmp_gt_i32_e32 vcc, 32, v26
	v_cndmask_b32_e32 v11, 0, v11, vcc
	v_cndmask_b32_e32 v10, 3, v10, vcc
	v_cmp_eq_u64_e64 s[18:19], 0, v[10:11]
	v_min_i32_e32 v11, 31, v26
	v_cmp_eq_u32_e32 vcc, 0, v26
	v_lshlrev_b32_e32 v11, 2, v11
	v_and_or_b32 v10, v10, 3, v11
	s_and_b64 s[18:19], vcc, s[18:19]
	v_cndmask_b32_e64 v10, v10, 0, s[18:19]
	v_or_b32_e32 v10, v10, v2
.LBB2_314:                              ;   in Loop: Header=BB2_282 Depth=3
	s_or_b64 exec, exec, s[52:53]
.LBB2_315:                              ;   in Loop: Header=BB2_282 Depth=3
	s_or_b64 exec, exec, s[50:51]
                                        ; implicit-def: $vgpr11
                                        ; implicit-def: $vgpr40_vgpr41
.LBB2_316:                              ;   in Loop: Header=BB2_282 Depth=3
	s_andn2_saveexec_b64 s[18:19], s[48:49]
; %bb.317:                              ;   in Loop: Header=BB2_282 Depth=3
	v_or_b32_sdwa v2, v11, s68 dst_sel:DWORD dst_unused:UNUSED_PAD src0_sel:BYTE_3 src1_sel:DWORD
	v_cmp_eq_u64_e32 vcc, 0, v[40:41]
	v_cndmask_b32_e32 v10, v2, v10, vcc
; %bb.318:                              ;   in Loop: Header=BB2_282 Depth=3
	s_or_b64 exec, exec, s[18:19]
	v_lshrrev_b16_e32 v40, 8, v54
	v_cmp_ne_u16_e32 vcc, 0, v40
	v_mov_b32_e32 v2, 0
	s_and_saveexec_b64 s[18:19], vcc
	s_cbranch_execz .LBB2_326
; %bb.319:                              ;   in Loop: Header=BB2_282 Depth=3
	v_cmp_ne_u16_e32 vcc, s66, v40
	v_bfrev_b32_e32 v2, 1
	s_and_saveexec_b64 s[48:49], vcc
	s_cbranch_execz .LBB2_325
; %bb.320:                              ;   in Loop: Header=BB2_282 Depth=3
	v_and_b32_e32 v2, 0x7c, v40
	v_and_b32_e32 v11, 3, v40
	v_cmp_ne_u32_e32 vcc, s64, v2
                                        ; implicit-def: $vgpr2
	s_and_saveexec_b64 s[50:51], vcc
	s_xor_b64 s[50:51], exec, s[50:51]
	s_cbranch_execz .LBB2_322
; %bb.321:                              ;   in Loop: Header=BB2_282 Depth=3
	v_ffbh_u32_e32 v26, v11
	v_min_u32_e32 v36, 32, v26
	v_mov_b32_e32 v41, v55
	v_subrev_u32_e32 v26, 29, v36
	v_bfe_u32 v2, v40, 2, 5
	v_lshlrev_b64 v[26:27], v26, v[40:41]
	v_sub_u32_e32 v27, 30, v36
	v_cmp_eq_u32_e32 vcc, 0, v2
	v_and_b32_e32 v26, 3, v26
	v_cndmask_b32_e32 v2, v2, v27, vcc
	v_cndmask_b32_e32 v11, v11, v26, vcc
	v_lshlrev_b32_e32 v26, 16, v54
	v_lshl_add_u32 v2, v2, 23, v7
	v_and_or_b32 v2, v26, s65, v2
	v_lshl_or_b32 v2, v11, 21, v2
                                        ; implicit-def: $vgpr11
.LBB2_322:                              ;   in Loop: Header=BB2_282 Depth=3
	s_andn2_saveexec_b64 s[50:51], s[50:51]
; %bb.323:                              ;   in Loop: Header=BB2_282 Depth=3
	v_cmp_lt_i16_e32 vcc, -1, v54
	v_cndmask_b32_e32 v2, v24, v25, vcc
	v_cmp_eq_u32_e32 vcc, 0, v11
	v_cndmask_b32_e32 v2, v6, v2, vcc
; %bb.324:                              ;   in Loop: Header=BB2_282 Depth=3
	s_or_b64 exec, exec, s[50:51]
.LBB2_325:                              ;   in Loop: Header=BB2_282 Depth=3
	s_or_b64 exec, exec, s[48:49]
.LBB2_326:                              ;   in Loop: Header=BB2_282 Depth=3
	s_or_b64 exec, exec, s[18:19]
	v_mul_f32_e32 v26, v62, v2
	v_and_b32_sdwa v2, v26, s66 dst_sel:DWORD dst_unused:UNUSED_PAD src0_sel:BYTE_3 src1_sel:DWORD
	v_and_b32_e32 v36, 0x7f800000, v26
	v_mov_b32_e32 v37, v55
	v_and_b32_e32 v40, 0x7fffff, v26
	v_mov_b32_e32 v41, v55
	v_or_b32_e32 v11, 0x7b, v2
	v_cmp_ne_u64_e32 vcc, s[38:39], v[36:37]
	s_and_saveexec_b64 s[18:19], vcc
	s_xor_b64 s[48:49], exec, s[18:19]
	s_cbranch_execz .LBB2_336
; %bb.327:                              ;   in Loop: Header=BB2_282 Depth=3
	v_and_b32_e32 v36, 0x7fffffff, v26
	v_mov_b32_e32 v37, v55
	v_cmp_gt_u64_e32 vcc, s[40:41], v[36:37]
	s_and_saveexec_b64 s[50:51], vcc
	s_cbranch_execz .LBB2_335
; %bb.328:                              ;   in Loop: Header=BB2_282 Depth=3
	v_cmp_ne_u32_e32 vcc, 0, v26
	v_mov_b32_e32 v11, 0
	s_and_saveexec_b64 s[52:53], vcc
	s_cbranch_execz .LBB2_334
; %bb.329:                              ;   in Loop: Header=BB2_282 Depth=3
	v_bfe_u32 v11, v26, 23, 8
	v_sub_u32_e32 v27, 0x71, v11
	v_cmp_gt_u32_e32 vcc, s67, v11
	v_cndmask_b32_e32 v27, 0, v27, vcc
	v_cmp_eq_u32_e32 vcc, 0, v11
	v_add_u32_e32 v26, 0xffffff81, v11
	v_cndmask_b32_e32 v38, v27, v49, vcc
	v_cndmask_b32_e32 v11, v26, v48, vcc
	v_add_u32_e32 v26, 21, v38
	v_or_b32_e32 v36, 0x800000, v40
	v_lshlrev_b64 v[26:27], v26, -1
	v_cndmask_b32_e32 v40, v36, v40, vcc
	v_not_b32_e32 v26, v26
	v_and_b32_e32 v36, v40, v26
	v_add_u32_e32 v26, 20, v38
	v_lshrrev_b64 v[40:41], v38, v[40:41]
	v_not_b32_e32 v27, v27
	v_lshlrev_b64 v[50:51], v26, 1
	v_lshrrev_b32_e32 v26, 23, v40
	v_and_b32_e32 v37, 0, v27
	v_add3_u32 v27, v38, v11, v26
	v_bfe_u32 v11, v40, 21, 1
	v_add_u32_e32 v11, -1, v11
	v_cmp_eq_u64_e32 vcc, v[36:37], v[50:51]
	v_cndmask_b32_e32 v11, 0, v11, vcc
	v_add_u32_e32 v11, v11, v40
	v_and_b32_e32 v11, 0x1fffff, v11
	v_add_co_u32_e32 v40, vcc, v11, v40
	v_add_u32_e32 v26, 14, v27
	v_addc_co_u32_e32 v41, vcc, 0, v41, vcc
	v_cmp_ne_u32_e32 vcc, 0, v26
                                        ; implicit-def: $vgpr11
	s_and_saveexec_b64 s[18:19], vcc
	s_xor_b64 s[18:19], exec, s[18:19]
; %bb.330:                              ;   in Loop: Header=BB2_282 Depth=3
	v_add_u32_e32 v11, 15, v27
	v_cmp_lt_u64_e32 vcc, s[42:43], v[40:41]
	v_cndmask_b32_e32 v11, v26, v11, vcc
	v_cndmask_b32_e64 v26, 0, 1, vcc
	v_lshrrev_b64 v[40:41], v26, v[40:41]
; %bb.331:                              ;   in Loop: Header=BB2_282 Depth=3
	s_andn2_saveexec_b64 s[18:19], s[18:19]
; %bb.332:                              ;   in Loop: Header=BB2_282 Depth=3
	v_bfe_u32 v11, v40, 23, 1
; %bb.333:                              ;   in Loop: Header=BB2_282 Depth=3
	s_or_b64 exec, exec, s[18:19]
	v_lshrrev_b64 v[26:27], 21, v[40:41]
	v_cmp_gt_i32_e32 vcc, 32, v11
	v_cndmask_b32_e32 v27, 0, v27, vcc
	v_cndmask_b32_e32 v26, 3, v26, vcc
	v_cmp_eq_u32_e32 vcc, 0, v11
	v_min_i32_e32 v11, 31, v11
	v_cmp_eq_u64_e64 s[18:19], 0, v[26:27]
	v_lshlrev_b32_e32 v11, 2, v11
	v_and_or_b32 v11, v26, 3, v11
	s_and_b64 s[18:19], vcc, s[18:19]
	v_cndmask_b32_e64 v11, v11, 0, s[18:19]
	v_or_b32_e32 v11, v11, v2
.LBB2_334:                              ;   in Loop: Header=BB2_282 Depth=3
	s_or_b64 exec, exec, s[52:53]
.LBB2_335:                              ;   in Loop: Header=BB2_282 Depth=3
	s_or_b64 exec, exec, s[50:51]
                                        ; implicit-def: $vgpr26
                                        ; implicit-def: $vgpr40_vgpr41
.LBB2_336:                              ;   in Loop: Header=BB2_282 Depth=3
	s_andn2_saveexec_b64 s[18:19], s[48:49]
; %bb.337:                              ;   in Loop: Header=BB2_282 Depth=3
	v_or_b32_sdwa v2, v26, s68 dst_sel:DWORD dst_unused:UNUSED_PAD src0_sel:BYTE_3 src1_sel:DWORD
	v_cmp_eq_u64_e32 vcc, 0, v[40:41]
	v_cndmask_b32_e32 v11, v2, v11, vcc
; %bb.338:                              ;   in Loop: Header=BB2_282 Depth=3
	s_or_b64 exec, exec, s[18:19]
	v_and_b32_sdwa v27, v54, s62 dst_sel:DWORD dst_unused:UNUSED_PAD src0_sel:WORD_1 src1_sel:DWORD
	v_lshrrev_b32_e32 v26, 16, v54
	v_cmp_ne_u16_e32 vcc, 0, v27
	v_mov_b32_e32 v2, 0
	s_and_saveexec_b64 s[18:19], vcc
	s_cbranch_execz .LBB2_346
; %bb.339:                              ;   in Loop: Header=BB2_282 Depth=3
	v_cmp_ne_u16_e32 vcc, s66, v27
	v_bfrev_b32_e32 v2, 1
	s_and_saveexec_b64 s[48:49], vcc
	s_cbranch_execz .LBB2_345
; %bb.340:                              ;   in Loop: Header=BB2_282 Depth=3
	v_and_b32_e32 v2, 0x7c0000, v54
	v_bfe_u32 v27, v54, 16, 2
	v_cmp_ne_u32_e32 vcc, s69, v2
                                        ; implicit-def: $vgpr2
	s_and_saveexec_b64 s[50:51], vcc
	s_xor_b64 s[50:51], exec, s[50:51]
	s_cbranch_execz .LBB2_342
; %bb.341:                              ;   in Loop: Header=BB2_282 Depth=3
	v_ffbh_u32_e32 v36, v27
	v_min_u32_e32 v38, 32, v36
	v_lshrrev_b32_e32 v2, 16, v54
	v_bfe_u32 v26, v54, 18, 5
	v_subrev_u32_e32 v36, 29, v38
	v_lshlrev_b64 v[36:37], v36, v[2:3]
	v_sub_u32_e32 v2, 30, v38
	v_cmp_eq_u32_e32 vcc, 0, v26
	v_and_b32_e32 v36, 3, v36
	v_cndmask_b32_e32 v2, v26, v2, vcc
	v_cndmask_b32_e32 v26, v27, v36, vcc
	v_lshlrev_b32_e32 v27, 8, v54
	v_lshl_add_u32 v2, v2, 23, v7
	v_and_or_b32 v2, v27, s65, v2
	v_lshl_or_b32 v2, v26, 21, v2
                                        ; implicit-def: $vgpr27
                                        ; implicit-def: $vgpr26
.LBB2_342:                              ;   in Loop: Header=BB2_282 Depth=3
	s_andn2_saveexec_b64 s[50:51], s[50:51]
; %bb.343:                              ;   in Loop: Header=BB2_282 Depth=3
	v_cmp_gt_i16_sdwa vcc, sext(v26), v47 src0_sel:BYTE_0 src1_sel:DWORD
	v_cndmask_b32_e32 v2, v24, v25, vcc
	v_cmp_eq_u32_e32 vcc, 0, v27
	v_cndmask_b32_e32 v2, v6, v2, vcc
; %bb.344:                              ;   in Loop: Header=BB2_282 Depth=3
	s_or_b64 exec, exec, s[50:51]
.LBB2_345:                              ;   in Loop: Header=BB2_282 Depth=3
	s_or_b64 exec, exec, s[48:49]
.LBB2_346:                              ;   in Loop: Header=BB2_282 Depth=3
	s_or_b64 exec, exec, s[18:19]
	v_mul_f32_e32 v27, v62, v2
	v_and_b32_sdwa v26, v27, s66 dst_sel:DWORD dst_unused:UNUSED_PAD src0_sel:BYTE_3 src1_sel:DWORD
	v_and_b32_e32 v36, 0x7f800000, v27
	v_mov_b32_e32 v37, v55
	v_and_b32_e32 v40, 0x7fffff, v27
	v_mov_b32_e32 v41, v55
	v_or_b32_e32 v2, 0x7b, v26
	v_cmp_ne_u64_e32 vcc, s[38:39], v[36:37]
	s_and_saveexec_b64 s[18:19], vcc
	s_xor_b64 s[48:49], exec, s[18:19]
	s_cbranch_execz .LBB2_356
; %bb.347:                              ;   in Loop: Header=BB2_282 Depth=3
	v_and_b32_e32 v36, 0x7fffffff, v27
	v_mov_b32_e32 v37, v55
	v_cmp_gt_u64_e32 vcc, s[40:41], v[36:37]
	s_and_saveexec_b64 s[50:51], vcc
	s_cbranch_execz .LBB2_355
; %bb.348:                              ;   in Loop: Header=BB2_282 Depth=3
	v_cmp_ne_u32_e32 vcc, 0, v27
	v_mov_b32_e32 v2, 0
	s_and_saveexec_b64 s[52:53], vcc
	s_cbranch_execz .LBB2_354
; %bb.349:                              ;   in Loop: Header=BB2_282 Depth=3
	v_bfe_u32 v2, v27, 23, 8
	v_sub_u32_e32 v36, 0x71, v2
	v_cmp_gt_u32_e32 vcc, s67, v2
	v_add_u32_e32 v27, 0xffffff81, v2
	v_cndmask_b32_e32 v36, 0, v36, vcc
	v_cmp_eq_u32_e32 vcc, 0, v2
	v_cndmask_b32_e32 v2, v27, v48, vcc
	v_cndmask_b32_e32 v27, v36, v49, vcc
	v_or_b32_e32 v37, 0x800000, v40
	v_add_u32_e32 v36, 21, v27
	v_cndmask_b32_e32 v40, v37, v40, vcc
	v_lshlrev_b64 v[36:37], v36, -1
	v_not_b32_e32 v36, v36
	v_and_b32_e32 v50, v40, v36
	v_add_u32_e32 v36, 20, v27
	v_lshrrev_b64 v[40:41], v27, v[40:41]
	v_not_b32_e32 v37, v37
	v_lshlrev_b64 v[38:39], v36, 1
	v_lshrrev_b32_e32 v36, 23, v40
	v_and_b32_e32 v51, 0, v37
	v_add3_u32 v36, v27, v2, v36
	v_bfe_u32 v2, v40, 21, 1
	v_add_u32_e32 v2, -1, v2
	v_cmp_eq_u64_e32 vcc, v[50:51], v[38:39]
	v_cndmask_b32_e32 v2, 0, v2, vcc
	v_add_u32_e32 v2, v2, v40
	v_and_b32_e32 v2, 0x1fffff, v2
	v_add_co_u32_e32 v40, vcc, v2, v40
	v_add_u32_e32 v27, 14, v36
	v_addc_co_u32_e32 v41, vcc, 0, v41, vcc
	v_cmp_ne_u32_e32 vcc, 0, v27
                                        ; implicit-def: $vgpr2
	s_and_saveexec_b64 s[18:19], vcc
	s_xor_b64 s[18:19], exec, s[18:19]
; %bb.350:                              ;   in Loop: Header=BB2_282 Depth=3
	v_add_u32_e32 v2, 15, v36
	v_cmp_lt_u64_e32 vcc, s[42:43], v[40:41]
	v_cndmask_b32_e32 v2, v27, v2, vcc
	v_cndmask_b32_e64 v27, 0, 1, vcc
	v_lshrrev_b64 v[40:41], v27, v[40:41]
; %bb.351:                              ;   in Loop: Header=BB2_282 Depth=3
	s_andn2_saveexec_b64 s[18:19], s[18:19]
; %bb.352:                              ;   in Loop: Header=BB2_282 Depth=3
	v_bfe_u32 v2, v40, 23, 1
; %bb.353:                              ;   in Loop: Header=BB2_282 Depth=3
	s_or_b64 exec, exec, s[18:19]
	v_lshrrev_b64 v[36:37], 21, v[40:41]
	v_cmp_gt_i32_e32 vcc, 32, v2
	v_cndmask_b32_e32 v37, 0, v37, vcc
	v_cndmask_b32_e32 v36, 3, v36, vcc
	v_cmp_eq_u32_e32 vcc, 0, v2
	v_min_i32_e32 v2, 31, v2
	v_cmp_eq_u64_e64 s[18:19], 0, v[36:37]
	v_lshlrev_b32_e32 v2, 2, v2
	v_and_or_b32 v2, v36, 3, v2
	s_and_b64 s[18:19], vcc, s[18:19]
	v_cndmask_b32_e64 v2, v2, 0, s[18:19]
	v_or_b32_e32 v2, v2, v26
.LBB2_354:                              ;   in Loop: Header=BB2_282 Depth=3
	s_or_b64 exec, exec, s[52:53]
.LBB2_355:                              ;   in Loop: Header=BB2_282 Depth=3
	s_or_b64 exec, exec, s[50:51]
                                        ; implicit-def: $vgpr27
                                        ; implicit-def: $vgpr40_vgpr41
.LBB2_356:                              ;   in Loop: Header=BB2_282 Depth=3
	s_andn2_saveexec_b64 s[18:19], s[48:49]
; %bb.357:                              ;   in Loop: Header=BB2_282 Depth=3
	v_or_b32_sdwa v26, v27, s68 dst_sel:DWORD dst_unused:UNUSED_PAD src0_sel:BYTE_3 src1_sel:DWORD
	v_cmp_eq_u64_e32 vcc, 0, v[40:41]
	v_cndmask_b32_e32 v2, v26, v2, vcc
; %bb.358:                              ;   in Loop: Header=BB2_282 Depth=3
	s_or_b64 exec, exec, s[18:19]
	v_cmp_lt_u32_e32 vcc, s37, v54
	v_mov_b32_e32 v26, 0
	s_and_saveexec_b64 s[18:19], vcc
	s_cbranch_execz .LBB2_366
; %bb.359:                              ;   in Loop: Header=BB2_282 Depth=3
	v_lshrrev_b32_e32 v40, 24, v54
	v_cmp_ne_u32_e32 vcc, s66, v40
	v_bfrev_b32_e32 v26, 1
	s_and_saveexec_b64 s[48:49], vcc
	s_cbranch_execz .LBB2_365
; %bb.360:                              ;   in Loop: Header=BB2_282 Depth=3
	v_and_b32_e32 v26, 0x7c000000, v54
	v_bfe_u32 v27, v54, 24, 2
	v_cmp_ne_u32_e32 vcc, s70, v26
                                        ; implicit-def: $vgpr26
	s_and_saveexec_b64 s[50:51], vcc
	s_xor_b64 s[50:51], exec, s[50:51]
	s_cbranch_execz .LBB2_362
; %bb.361:                              ;   in Loop: Header=BB2_282 Depth=3
	v_ffbh_u32_e32 v36, v27
	v_min_u32_e32 v38, 32, v36
	v_subrev_u32_e32 v36, 29, v38
	v_bfe_u32 v26, v54, 26, 5
	v_lshlrev_b64 v[36:37], v36, v[40:41]
	v_sub_u32_e32 v37, 30, v38
	v_cmp_eq_u32_e32 vcc, 0, v26
	v_cndmask_b32_e32 v26, v26, v37, vcc
	v_and_b32_e32 v36, 3, v36
	v_lshl_add_u32 v26, v26, 23, v7
	v_cndmask_b32_e32 v27, v27, v36, vcc
	v_and_or_b32 v26, v54, s65, v26
	v_lshl_or_b32 v26, v27, 21, v26
                                        ; implicit-def: $vgpr27
.LBB2_362:                              ;   in Loop: Header=BB2_282 Depth=3
	s_andn2_saveexec_b64 s[50:51], s[50:51]
; %bb.363:                              ;   in Loop: Header=BB2_282 Depth=3
	v_cmp_lt_i32_e32 vcc, -1, v54
	v_cndmask_b32_e32 v26, v24, v25, vcc
	v_cmp_eq_u32_e32 vcc, 0, v27
	v_cndmask_b32_e32 v26, v6, v26, vcc
; %bb.364:                              ;   in Loop: Header=BB2_282 Depth=3
	s_or_b64 exec, exec, s[50:51]
.LBB2_365:                              ;   in Loop: Header=BB2_282 Depth=3
	s_or_b64 exec, exec, s[48:49]
.LBB2_366:                              ;   in Loop: Header=BB2_282 Depth=3
	s_or_b64 exec, exec, s[18:19]
	v_mul_f32_e32 v36, v62, v26
	v_and_b32_sdwa v26, v36, s66 dst_sel:DWORD dst_unused:UNUSED_PAD src0_sel:BYTE_3 src1_sel:DWORD
	v_and_b32_e32 v38, 0x7f800000, v36
	v_mov_b32_e32 v39, v55
	v_and_b32_e32 v54, 0x7fffff, v36
	v_or_b32_e32 v27, 0x7b, v26
	v_cmp_ne_u64_e32 vcc, s[38:39], v[38:39]
	s_and_saveexec_b64 s[18:19], vcc
	s_xor_b64 s[48:49], exec, s[18:19]
	s_cbranch_execz .LBB2_376
; %bb.367:                              ;   in Loop: Header=BB2_282 Depth=3
	v_and_b32_e32 v38, 0x7fffffff, v36
	v_mov_b32_e32 v39, v55
	v_cmp_gt_u64_e32 vcc, s[40:41], v[38:39]
	s_and_saveexec_b64 s[50:51], vcc
	s_cbranch_execz .LBB2_375
; %bb.368:                              ;   in Loop: Header=BB2_282 Depth=3
	v_cmp_ne_u32_e32 vcc, 0, v36
	v_mov_b32_e32 v27, 0
	s_and_saveexec_b64 s[52:53], vcc
	s_cbranch_execz .LBB2_374
; %bb.369:                              ;   in Loop: Header=BB2_282 Depth=3
	v_bfe_u32 v27, v36, 23, 8
	v_sub_u32_e32 v37, 0x71, v27
	v_cmp_gt_u32_e32 vcc, s67, v27
	v_cndmask_b32_e32 v37, 0, v37, vcc
	v_cmp_eq_u32_e32 vcc, 0, v27
	v_cndmask_b32_e32 v12, v37, v49, vcc
	v_add_u32_e32 v36, 0xffffff81, v27
	v_add_u32_e32 v13, 21, v12
	v_or_b32_e32 v38, 0x800000, v54
	v_cndmask_b32_e32 v27, v36, v48, vcc
	v_lshlrev_b64 v[36:37], v13, -1
	v_cndmask_b32_e32 v54, v38, v54, vcc
	v_not_b32_e32 v13, v37
	v_and_b32_e32 v39, 0, v13
	v_add_u32_e32 v13, 20, v12
	v_lshrrev_b64 v[40:41], v12, v[54:55]
	v_not_b32_e32 v14, v36
	v_lshlrev_b64 v[50:51], v13, 1
	v_lshrrev_b32_e32 v13, 23, v40
	v_and_b32_e32 v38, v54, v14
	v_add3_u32 v37, v12, v27, v13
	v_bfe_u32 v12, v40, 21, 1
	v_add_u32_e32 v12, -1, v12
	v_cmp_eq_u64_e32 vcc, v[38:39], v[50:51]
	v_cndmask_b32_e32 v12, 0, v12, vcc
	v_add_u32_e32 v12, v12, v40
	v_and_b32_e32 v12, 0x1fffff, v12
	v_add_co_u32_e32 v40, vcc, v12, v40
	v_add_u32_e32 v36, 14, v37
	v_addc_co_u32_e32 v41, vcc, 0, v41, vcc
	v_cmp_ne_u32_e32 vcc, 0, v36
                                        ; implicit-def: $vgpr27
	s_and_saveexec_b64 s[18:19], vcc
	s_xor_b64 s[18:19], exec, s[18:19]
; %bb.370:                              ;   in Loop: Header=BB2_282 Depth=3
	v_add_u32_e32 v12, 15, v37
	v_cmp_lt_u64_e32 vcc, s[42:43], v[40:41]
	v_cndmask_b32_e32 v27, v36, v12, vcc
	v_cndmask_b32_e64 v12, 0, 1, vcc
	v_lshrrev_b64 v[40:41], v12, v[40:41]
; %bb.371:                              ;   in Loop: Header=BB2_282 Depth=3
	s_andn2_saveexec_b64 s[18:19], s[18:19]
; %bb.372:                              ;   in Loop: Header=BB2_282 Depth=3
	v_bfe_u32 v27, v40, 23, 1
; %bb.373:                              ;   in Loop: Header=BB2_282 Depth=3
	s_or_b64 exec, exec, s[18:19]
	v_lshrrev_b64 v[36:37], 21, v[40:41]
	v_cmp_gt_i32_e32 vcc, 32, v27
	v_cndmask_b32_e32 v37, 0, v37, vcc
	v_cndmask_b32_e32 v36, 3, v36, vcc
	v_min_i32_e32 v12, 31, v27
	v_cmp_eq_u32_e32 vcc, 0, v27
	v_cmp_eq_u64_e64 s[18:19], 0, v[36:37]
	v_lshlrev_b32_e32 v12, 2, v12
	v_and_or_b32 v12, v36, 3, v12
	s_and_b64 s[18:19], vcc, s[18:19]
	v_cndmask_b32_e64 v12, v12, 0, s[18:19]
	v_or_b32_e32 v27, v12, v26
.LBB2_374:                              ;   in Loop: Header=BB2_282 Depth=3
	s_or_b64 exec, exec, s[52:53]
.LBB2_375:                              ;   in Loop: Header=BB2_282 Depth=3
	s_or_b64 exec, exec, s[50:51]
                                        ; implicit-def: $vgpr36
.LBB2_376:                              ;   in Loop: Header=BB2_282 Depth=3
	s_andn2_saveexec_b64 s[18:19], s[48:49]
; %bb.377:                              ;   in Loop: Header=BB2_282 Depth=3
	v_or_b32_sdwa v26, v36, s68 dst_sel:DWORD dst_unused:UNUSED_PAD src0_sel:BYTE_3 src1_sel:DWORD
	v_cmp_eq_u64_e32 vcc, 0, v[54:55]
	v_cndmask_b32_e32 v27, v26, v27, vcc
; %bb.378:                              ;   in Loop: Header=BB2_282 Depth=3
	s_or_b64 exec, exec, s[18:19]
	v_alignbit_b32 v54, v22, v23, v1
	v_cmp_ne_u16_sdwa vcc, v54, v55 src0_sel:BYTE_0 src1_sel:DWORD
	v_mov_b32_e32 v1, 0
	s_and_saveexec_b64 s[18:19], vcc
	s_cbranch_execz .LBB2_386
; %bb.379:                              ;   in Loop: Header=BB2_282 Depth=3
	v_cmp_ne_u16_sdwa vcc, sext(v54), s63 src0_sel:BYTE_0 src1_sel:DWORD
	v_bfrev_b32_e32 v1, 1
	s_and_saveexec_b64 s[48:49], vcc
	s_cbranch_execz .LBB2_385
; %bb.380:                              ;   in Loop: Header=BB2_282 Depth=3
	v_and_b32_e32 v1, 0x7c, v54
	v_and_b32_e32 v22, 3, v54
	v_cmp_ne_u32_e32 vcc, s64, v1
                                        ; implicit-def: $vgpr1
	s_and_saveexec_b64 s[50:51], vcc
	s_xor_b64 s[50:51], exec, s[50:51]
	s_cbranch_execz .LBB2_382
; %bb.381:                              ;   in Loop: Header=BB2_282 Depth=3
	v_ffbh_u32_e32 v12, v22
	v_min_u32_e32 v12, 32, v12
	v_bfe_u32 v1, v54, 2, 5
	v_subrev_u32_e32 v13, 29, v12
	v_lshlrev_b64 v[36:37], v13, v[54:55]
	v_sub_u32_e32 v12, 30, v12
	v_cmp_eq_u32_e32 vcc, 0, v1
	v_and_b32_e32 v13, 3, v36
	v_cndmask_b32_e32 v1, v1, v12, vcc
	v_cndmask_b32_e32 v12, v22, v13, vcc
	v_lshlrev_b32_e32 v13, 24, v54
	v_lshl_add_u32 v1, v1, 23, v7
	v_and_or_b32 v1, v13, s65, v1
	v_lshl_or_b32 v1, v12, 21, v1
                                        ; implicit-def: $vgpr22
.LBB2_382:                              ;   in Loop: Header=BB2_282 Depth=3
	s_andn2_saveexec_b64 s[50:51], s[50:51]
; %bb.383:                              ;   in Loop: Header=BB2_282 Depth=3
	v_cmp_gt_i16_sdwa vcc, sext(v54), v47 src0_sel:BYTE_0 src1_sel:DWORD
	v_cndmask_b32_e32 v1, v24, v25, vcc
	v_cmp_eq_u32_e32 vcc, 0, v22
	v_cndmask_b32_e32 v1, v6, v1, vcc
; %bb.384:                              ;   in Loop: Header=BB2_282 Depth=3
	s_or_b64 exec, exec, s[50:51]
.LBB2_385:                              ;   in Loop: Header=BB2_282 Depth=3
	s_or_b64 exec, exec, s[48:49]
.LBB2_386:                              ;   in Loop: Header=BB2_282 Depth=3
	s_or_b64 exec, exec, s[18:19]
	v_mul_f32_e32 v22, v62, v1
	v_and_b32_sdwa v1, v22, s66 dst_sel:DWORD dst_unused:UNUSED_PAD src0_sel:BYTE_3 src1_sel:DWORD
	v_and_b32_e32 v36, 0x7f800000, v22
	v_mov_b32_e32 v37, v55
	v_and_b32_e32 v40, 0x7fffff, v22
	v_mov_b32_e32 v41, v55
	v_or_b32_e32 v26, 0x7b, v1
	v_cmp_ne_u64_e32 vcc, s[38:39], v[36:37]
	s_and_saveexec_b64 s[18:19], vcc
	s_xor_b64 s[48:49], exec, s[18:19]
	s_cbranch_execz .LBB2_396
; %bb.387:                              ;   in Loop: Header=BB2_282 Depth=3
	v_and_b32_e32 v36, 0x7fffffff, v22
	v_mov_b32_e32 v37, v55
	v_cmp_gt_u64_e32 vcc, s[40:41], v[36:37]
	s_and_saveexec_b64 s[50:51], vcc
	s_cbranch_execz .LBB2_395
; %bb.388:                              ;   in Loop: Header=BB2_282 Depth=3
	v_cmp_ne_u32_e32 vcc, 0, v22
	v_mov_b32_e32 v26, 0
	s_and_saveexec_b64 s[52:53], vcc
	s_cbranch_execz .LBB2_394
; %bb.389:                              ;   in Loop: Header=BB2_282 Depth=3
	v_bfe_u32 v12, v22, 23, 8
	v_sub_u32_e32 v14, 0x71, v12
	v_cmp_gt_u32_e32 vcc, s67, v12
	v_add_u32_e32 v13, 0xffffff81, v12
	v_cndmask_b32_e32 v14, 0, v14, vcc
	v_cmp_eq_u32_e32 vcc, 0, v12
	v_cndmask_b32_e32 v12, v13, v48, vcc
	v_cndmask_b32_e32 v13, v14, v49, vcc
	v_add_u32_e32 v14, 21, v13
	v_or_b32_e32 v15, 0x800000, v40
	v_lshlrev_b64 v[22:23], v14, -1
	v_cndmask_b32_e32 v40, v15, v40, vcc
	v_not_b32_e32 v14, v23
	v_and_b32_e32 v37, 0, v14
	v_add_u32_e32 v14, 20, v13
	v_lshrrev_b64 v[50:51], v13, v[40:41]
	v_not_b32_e32 v15, v22
	v_lshlrev_b64 v[38:39], v14, 1
	v_lshrrev_b32_e32 v14, 23, v50
	v_and_b32_e32 v36, v40, v15
	v_add3_u32 v26, v13, v12, v14
	v_bfe_u32 v12, v50, 21, 1
	v_add_u32_e32 v12, -1, v12
	v_cmp_eq_u64_e32 vcc, v[36:37], v[38:39]
	v_cndmask_b32_e32 v12, 0, v12, vcc
	v_add_u32_e32 v12, v12, v50
	v_and_b32_e32 v12, 0x1fffff, v12
	v_add_co_u32_e32 v40, vcc, v12, v50
	v_add_u32_e32 v23, 14, v26
	v_addc_co_u32_e32 v41, vcc, 0, v51, vcc
	v_cmp_ne_u32_e32 vcc, 0, v23
                                        ; implicit-def: $vgpr22
	s_and_saveexec_b64 s[18:19], vcc
	s_xor_b64 s[18:19], exec, s[18:19]
; %bb.390:                              ;   in Loop: Header=BB2_282 Depth=3
	v_add_u32_e32 v12, 15, v26
	v_cmp_lt_u64_e32 vcc, s[42:43], v[40:41]
	v_cndmask_b32_e32 v22, v23, v12, vcc
	v_cndmask_b32_e64 v12, 0, 1, vcc
	v_lshrrev_b64 v[40:41], v12, v[40:41]
; %bb.391:                              ;   in Loop: Header=BB2_282 Depth=3
	s_andn2_saveexec_b64 s[18:19], s[18:19]
; %bb.392:                              ;   in Loop: Header=BB2_282 Depth=3
	v_bfe_u32 v22, v40, 23, 1
; %bb.393:                              ;   in Loop: Header=BB2_282 Depth=3
	s_or_b64 exec, exec, s[18:19]
	v_lshrrev_b64 v[36:37], 21, v[40:41]
	v_cmp_gt_i32_e32 vcc, 32, v22
	v_cndmask_b32_e32 v37, 0, v37, vcc
	v_cndmask_b32_e32 v36, 3, v36, vcc
	v_min_i32_e32 v12, 31, v22
	v_cmp_eq_u32_e32 vcc, 0, v22
	v_cmp_eq_u64_e64 s[18:19], 0, v[36:37]
	v_lshlrev_b32_e32 v12, 2, v12
	v_and_or_b32 v12, v36, 3, v12
	s_and_b64 s[18:19], vcc, s[18:19]
	v_cndmask_b32_e64 v12, v12, 0, s[18:19]
	v_or_b32_e32 v26, v12, v1
.LBB2_394:                              ;   in Loop: Header=BB2_282 Depth=3
	s_or_b64 exec, exec, s[52:53]
.LBB2_395:                              ;   in Loop: Header=BB2_282 Depth=3
	s_or_b64 exec, exec, s[50:51]
                                        ; implicit-def: $vgpr22
                                        ; implicit-def: $vgpr40_vgpr41
.LBB2_396:                              ;   in Loop: Header=BB2_282 Depth=3
	s_andn2_saveexec_b64 s[18:19], s[48:49]
; %bb.397:                              ;   in Loop: Header=BB2_282 Depth=3
	v_or_b32_sdwa v1, v22, s68 dst_sel:DWORD dst_unused:UNUSED_PAD src0_sel:BYTE_3 src1_sel:DWORD
	v_cmp_eq_u64_e32 vcc, 0, v[40:41]
	v_cndmask_b32_e32 v26, v1, v26, vcc
; %bb.398:                              ;   in Loop: Header=BB2_282 Depth=3
	s_or_b64 exec, exec, s[18:19]
	v_lshrrev_b16_e32 v40, 8, v54
	v_cmp_ne_u16_e32 vcc, 0, v40
	v_mov_b32_e32 v1, 0
	s_and_saveexec_b64 s[18:19], vcc
	s_cbranch_execz .LBB2_406
; %bb.399:                              ;   in Loop: Header=BB2_282 Depth=3
	v_cmp_ne_u16_e32 vcc, s66, v40
	v_bfrev_b32_e32 v1, 1
	s_and_saveexec_b64 s[48:49], vcc
	s_cbranch_execz .LBB2_405
; %bb.400:                              ;   in Loop: Header=BB2_282 Depth=3
	v_and_b32_e32 v1, 0x7c, v40
	v_and_b32_e32 v22, 3, v40
	v_cmp_ne_u32_e32 vcc, s64, v1
                                        ; implicit-def: $vgpr1
	s_and_saveexec_b64 s[50:51], vcc
	s_xor_b64 s[50:51], exec, s[50:51]
	s_cbranch_execz .LBB2_402
; %bb.401:                              ;   in Loop: Header=BB2_282 Depth=3
	v_ffbh_u32_e32 v12, v22
	v_min_u32_e32 v12, 32, v12
	v_mov_b32_e32 v41, v55
	v_bfe_u32 v1, v40, 2, 5
	v_subrev_u32_e32 v13, 29, v12
	v_lshlrev_b64 v[36:37], v13, v[40:41]
	v_sub_u32_e32 v12, 30, v12
	v_cmp_eq_u32_e32 vcc, 0, v1
	v_and_b32_e32 v13, 3, v36
	v_cndmask_b32_e32 v1, v1, v12, vcc
	v_cndmask_b32_e32 v12, v22, v13, vcc
	v_lshlrev_b32_e32 v13, 16, v54
	v_lshl_add_u32 v1, v1, 23, v7
	v_and_or_b32 v1, v13, s65, v1
	v_lshl_or_b32 v1, v12, 21, v1
                                        ; implicit-def: $vgpr22
.LBB2_402:                              ;   in Loop: Header=BB2_282 Depth=3
	s_andn2_saveexec_b64 s[50:51], s[50:51]
; %bb.403:                              ;   in Loop: Header=BB2_282 Depth=3
	v_cmp_lt_i16_e32 vcc, -1, v54
	v_cndmask_b32_e32 v1, v24, v25, vcc
	v_cmp_eq_u32_e32 vcc, 0, v22
	v_cndmask_b32_e32 v1, v6, v1, vcc
; %bb.404:                              ;   in Loop: Header=BB2_282 Depth=3
	s_or_b64 exec, exec, s[50:51]
.LBB2_405:                              ;   in Loop: Header=BB2_282 Depth=3
	s_or_b64 exec, exec, s[48:49]
.LBB2_406:                              ;   in Loop: Header=BB2_282 Depth=3
	s_or_b64 exec, exec, s[18:19]
	v_mul_f32_e32 v23, v62, v1
	v_and_b32_sdwa v1, v23, s66 dst_sel:DWORD dst_unused:UNUSED_PAD src0_sel:BYTE_3 src1_sel:DWORD
	v_and_b32_e32 v36, 0x7f800000, v23
	v_mov_b32_e32 v37, v55
	v_and_b32_e32 v40, 0x7fffff, v23
	v_mov_b32_e32 v41, v55
	v_or_b32_e32 v22, 0x7b, v1
	v_cmp_ne_u64_e32 vcc, s[38:39], v[36:37]
	s_and_saveexec_b64 s[18:19], vcc
	s_xor_b64 s[48:49], exec, s[18:19]
	s_cbranch_execz .LBB2_416
; %bb.407:                              ;   in Loop: Header=BB2_282 Depth=3
	v_and_b32_e32 v36, 0x7fffffff, v23
	v_mov_b32_e32 v37, v55
	v_cmp_gt_u64_e32 vcc, s[40:41], v[36:37]
	s_and_saveexec_b64 s[50:51], vcc
	s_cbranch_execz .LBB2_415
; %bb.408:                              ;   in Loop: Header=BB2_282 Depth=3
	v_cmp_ne_u32_e32 vcc, 0, v23
	v_mov_b32_e32 v22, 0
	s_and_saveexec_b64 s[52:53], vcc
	s_cbranch_execz .LBB2_414
; %bb.409:                              ;   in Loop: Header=BB2_282 Depth=3
	v_bfe_u32 v12, v23, 23, 8
	v_sub_u32_e32 v14, 0x71, v12
	v_cmp_gt_u32_e32 vcc, s67, v12
	v_add_u32_e32 v13, 0xffffff81, v12
	v_cndmask_b32_e32 v14, 0, v14, vcc
	v_cmp_eq_u32_e32 vcc, 0, v12
	v_cndmask_b32_e32 v12, v13, v48, vcc
	v_cndmask_b32_e32 v13, v14, v49, vcc
	v_add_u32_e32 v14, 21, v13
	v_or_b32_e32 v15, 0x800000, v40
	v_lshlrev_b64 v[22:23], v14, -1
	v_cndmask_b32_e32 v40, v15, v40, vcc
	v_not_b32_e32 v14, v23
	v_not_b32_e32 v15, v22
	v_and_b32_e32 v39, 0, v14
	v_and_b32_e32 v38, v40, v15
	v_add_u32_e32 v14, 20, v13
	v_lshrrev_b64 v[40:41], v13, v[40:41]
	v_lshlrev_b64 v[50:51], v14, 1
	v_lshrrev_b32_e32 v14, 23, v40
	v_add3_u32 v36, v13, v12, v14
	v_bfe_u32 v12, v40, 21, 1
	v_add_u32_e32 v12, -1, v12
	v_cmp_eq_u64_e32 vcc, v[38:39], v[50:51]
	v_cndmask_b32_e32 v12, 0, v12, vcc
	v_add_u32_e32 v12, v12, v40
	v_and_b32_e32 v12, 0x1fffff, v12
	v_add_co_u32_e32 v40, vcc, v12, v40
	v_add_u32_e32 v23, 14, v36
	v_addc_co_u32_e32 v41, vcc, 0, v41, vcc
	v_cmp_ne_u32_e32 vcc, 0, v23
                                        ; implicit-def: $vgpr22
	s_and_saveexec_b64 s[18:19], vcc
	s_xor_b64 s[18:19], exec, s[18:19]
; %bb.410:                              ;   in Loop: Header=BB2_282 Depth=3
	v_add_u32_e32 v12, 15, v36
	v_cmp_lt_u64_e32 vcc, s[42:43], v[40:41]
	v_cndmask_b32_e32 v22, v23, v12, vcc
	v_cndmask_b32_e64 v12, 0, 1, vcc
	v_lshrrev_b64 v[40:41], v12, v[40:41]
; %bb.411:                              ;   in Loop: Header=BB2_282 Depth=3
	s_andn2_saveexec_b64 s[18:19], s[18:19]
; %bb.412:                              ;   in Loop: Header=BB2_282 Depth=3
	v_bfe_u32 v22, v40, 23, 1
; %bb.413:                              ;   in Loop: Header=BB2_282 Depth=3
	s_or_b64 exec, exec, s[18:19]
	v_lshrrev_b64 v[36:37], 21, v[40:41]
	v_cmp_gt_i32_e32 vcc, 32, v22
	v_cndmask_b32_e32 v37, 0, v37, vcc
	v_cndmask_b32_e32 v36, 3, v36, vcc
	v_min_i32_e32 v12, 31, v22
	v_cmp_eq_u32_e32 vcc, 0, v22
	v_cmp_eq_u64_e64 s[18:19], 0, v[36:37]
	v_lshlrev_b32_e32 v12, 2, v12
	v_and_or_b32 v12, v36, 3, v12
	s_and_b64 s[18:19], vcc, s[18:19]
	v_cndmask_b32_e64 v12, v12, 0, s[18:19]
	v_or_b32_e32 v22, v12, v1
.LBB2_414:                              ;   in Loop: Header=BB2_282 Depth=3
	s_or_b64 exec, exec, s[52:53]
.LBB2_415:                              ;   in Loop: Header=BB2_282 Depth=3
	s_or_b64 exec, exec, s[50:51]
                                        ; implicit-def: $vgpr23
                                        ; implicit-def: $vgpr40_vgpr41
.LBB2_416:                              ;   in Loop: Header=BB2_282 Depth=3
	s_andn2_saveexec_b64 s[18:19], s[48:49]
; %bb.417:                              ;   in Loop: Header=BB2_282 Depth=3
	v_or_b32_sdwa v1, v23, s68 dst_sel:DWORD dst_unused:UNUSED_PAD src0_sel:BYTE_3 src1_sel:DWORD
	v_cmp_eq_u64_e32 vcc, 0, v[40:41]
	v_cndmask_b32_e32 v22, v1, v22, vcc
; %bb.418:                              ;   in Loop: Header=BB2_282 Depth=3
	s_or_b64 exec, exec, s[18:19]
	v_and_b32_sdwa v23, v54, s62 dst_sel:DWORD dst_unused:UNUSED_PAD src0_sel:WORD_1 src1_sel:DWORD
	v_lshrrev_b32_e32 v40, 16, v54
	v_cmp_ne_u16_e32 vcc, 0, v23
	v_mov_b32_e32 v1, 0
	s_and_saveexec_b64 s[18:19], vcc
	s_cbranch_execz .LBB2_426
; %bb.419:                              ;   in Loop: Header=BB2_282 Depth=3
	v_cmp_ne_u16_e32 vcc, s66, v23
	v_bfrev_b32_e32 v1, 1
	s_and_saveexec_b64 s[48:49], vcc
	s_cbranch_execz .LBB2_425
; %bb.420:                              ;   in Loop: Header=BB2_282 Depth=3
	v_and_b32_e32 v1, 0x7c0000, v54
	v_bfe_u32 v23, v54, 16, 2
	v_cmp_ne_u32_e32 vcc, s69, v1
                                        ; implicit-def: $vgpr1
	s_and_saveexec_b64 s[50:51], vcc
	s_xor_b64 s[50:51], exec, s[50:51]
	s_cbranch_execz .LBB2_422
; %bb.421:                              ;   in Loop: Header=BB2_282 Depth=3
	v_ffbh_u32_e32 v12, v23
	v_min_u32_e32 v12, 32, v12
	v_bfe_u32 v1, v54, 18, 5
	v_subrev_u32_e32 v13, 29, v12
	v_lshlrev_b64 v[36:37], v13, v[40:41]
	v_sub_u32_e32 v12, 30, v12
	v_cmp_eq_u32_e32 vcc, 0, v1
	v_and_b32_e32 v13, 3, v36
	v_cndmask_b32_e32 v1, v1, v12, vcc
	v_cndmask_b32_e32 v12, v23, v13, vcc
	v_lshlrev_b32_e32 v13, 8, v54
	v_lshl_add_u32 v1, v1, 23, v7
	v_and_or_b32 v1, v13, s65, v1
	v_lshl_or_b32 v1, v12, 21, v1
                                        ; implicit-def: $vgpr23
                                        ; implicit-def: $vgpr40
.LBB2_422:                              ;   in Loop: Header=BB2_282 Depth=3
	s_andn2_saveexec_b64 s[50:51], s[50:51]
; %bb.423:                              ;   in Loop: Header=BB2_282 Depth=3
	v_cmp_gt_i16_sdwa vcc, sext(v40), v47 src0_sel:BYTE_0 src1_sel:DWORD
	v_cndmask_b32_e32 v1, v24, v25, vcc
	v_cmp_eq_u32_e32 vcc, 0, v23
	v_cndmask_b32_e32 v1, v6, v1, vcc
; %bb.424:                              ;   in Loop: Header=BB2_282 Depth=3
	s_or_b64 exec, exec, s[50:51]
.LBB2_425:                              ;   in Loop: Header=BB2_282 Depth=3
	s_or_b64 exec, exec, s[48:49]
.LBB2_426:                              ;   in Loop: Header=BB2_282 Depth=3
	s_or_b64 exec, exec, s[18:19]
	v_mul_f32_e32 v36, v62, v1
	v_and_b32_sdwa v23, v36, s66 dst_sel:DWORD dst_unused:UNUSED_PAD src0_sel:BYTE_3 src1_sel:DWORD
	v_and_b32_e32 v38, 0x7f800000, v36
	v_mov_b32_e32 v39, v55
	v_and_b32_e32 v40, 0x7fffff, v36
	v_mov_b32_e32 v41, v55
	v_or_b32_e32 v1, 0x7b, v23
	v_cmp_ne_u64_e32 vcc, s[38:39], v[38:39]
	s_and_saveexec_b64 s[18:19], vcc
	s_xor_b64 s[48:49], exec, s[18:19]
	s_cbranch_execz .LBB2_436
; %bb.427:                              ;   in Loop: Header=BB2_282 Depth=3
	v_and_b32_e32 v38, 0x7fffffff, v36
	v_mov_b32_e32 v39, v55
	v_cmp_gt_u64_e32 vcc, s[40:41], v[38:39]
	s_and_saveexec_b64 s[50:51], vcc
	s_cbranch_execz .LBB2_435
; %bb.428:                              ;   in Loop: Header=BB2_282 Depth=3
	v_cmp_ne_u32_e32 vcc, 0, v36
	v_mov_b32_e32 v1, 0
	s_and_saveexec_b64 s[52:53], vcc
	s_cbranch_execz .LBB2_434
; %bb.429:                              ;   in Loop: Header=BB2_282 Depth=3
	v_bfe_u32 v1, v36, 23, 8
	v_sub_u32_e32 v13, 0x71, v1
	v_cmp_gt_u32_e32 vcc, s67, v1
	v_add_u32_e32 v12, 0xffffff81, v1
	v_cndmask_b32_e32 v13, 0, v13, vcc
	v_cmp_eq_u32_e32 vcc, 0, v1
	v_cndmask_b32_e32 v1, v12, v48, vcc
	v_cndmask_b32_e32 v12, v13, v49, vcc
	v_add_u32_e32 v13, 21, v12
	v_or_b32_e32 v14, 0x800000, v40
	v_lshlrev_b64 v[36:37], v13, -1
	v_cndmask_b32_e32 v40, v14, v40, vcc
	v_not_b32_e32 v13, v37
	v_not_b32_e32 v14, v36
	v_and_b32_e32 v39, 0, v13
	v_and_b32_e32 v38, v40, v14
	v_add_u32_e32 v13, 20, v12
	v_lshrrev_b64 v[40:41], v12, v[40:41]
	v_lshlrev_b64 v[50:51], v13, 1
	v_lshrrev_b32_e32 v13, 23, v40
	v_add3_u32 v37, v12, v1, v13
	v_bfe_u32 v1, v40, 21, 1
	v_add_u32_e32 v1, -1, v1
	v_cmp_eq_u64_e32 vcc, v[38:39], v[50:51]
	v_cndmask_b32_e32 v1, 0, v1, vcc
	v_add_u32_e32 v1, v1, v40
	v_and_b32_e32 v1, 0x1fffff, v1
	v_add_co_u32_e32 v40, vcc, v1, v40
	v_add_u32_e32 v36, 14, v37
	v_addc_co_u32_e32 v41, vcc, 0, v41, vcc
	v_cmp_ne_u32_e32 vcc, 0, v36
                                        ; implicit-def: $vgpr1
	s_and_saveexec_b64 s[18:19], vcc
	s_xor_b64 s[18:19], exec, s[18:19]
; %bb.430:                              ;   in Loop: Header=BB2_282 Depth=3
	v_cmp_lt_u64_e32 vcc, s[42:43], v[40:41]
	v_add_u32_e32 v1, 15, v37
	v_cndmask_b32_e64 v12, 0, 1, vcc
	v_cndmask_b32_e32 v1, v36, v1, vcc
	v_lshrrev_b64 v[40:41], v12, v[40:41]
; %bb.431:                              ;   in Loop: Header=BB2_282 Depth=3
	s_andn2_saveexec_b64 s[18:19], s[18:19]
; %bb.432:                              ;   in Loop: Header=BB2_282 Depth=3
	v_bfe_u32 v1, v40, 23, 1
; %bb.433:                              ;   in Loop: Header=BB2_282 Depth=3
	s_or_b64 exec, exec, s[18:19]
	v_lshrrev_b64 v[36:37], 21, v[40:41]
	v_cmp_gt_i32_e32 vcc, 32, v1
	v_cndmask_b32_e32 v37, 0, v37, vcc
	v_cndmask_b32_e32 v36, 3, v36, vcc
	v_cmp_eq_u32_e32 vcc, 0, v1
	v_min_i32_e32 v1, 31, v1
	v_lshlrev_b32_e32 v1, 2, v1
	v_cmp_eq_u64_e64 s[18:19], 0, v[36:37]
	v_and_b32_e32 v1, 0xfc, v1
	v_and_or_b32 v1, v36, 3, v1
	s_and_b64 s[18:19], vcc, s[18:19]
	v_cndmask_b32_e64 v1, v1, 0, s[18:19]
	v_or_b32_e32 v1, v1, v23
.LBB2_434:                              ;   in Loop: Header=BB2_282 Depth=3
	s_or_b64 exec, exec, s[52:53]
.LBB2_435:                              ;   in Loop: Header=BB2_282 Depth=3
	s_or_b64 exec, exec, s[50:51]
                                        ; implicit-def: $vgpr36
                                        ; implicit-def: $vgpr40_vgpr41
.LBB2_436:                              ;   in Loop: Header=BB2_282 Depth=3
	s_andn2_saveexec_b64 s[18:19], s[48:49]
; %bb.437:                              ;   in Loop: Header=BB2_282 Depth=3
	v_or_b32_sdwa v12, v36, s68 dst_sel:DWORD dst_unused:UNUSED_PAD src0_sel:BYTE_3 src1_sel:DWORD
	v_cmp_eq_u64_e32 vcc, 0, v[40:41]
	v_cndmask_b32_e32 v1, v12, v1, vcc
; %bb.438:                              ;   in Loop: Header=BB2_282 Depth=3
	s_or_b64 exec, exec, s[18:19]
	v_cmp_lt_u32_e32 vcc, s37, v54
	v_mov_b32_e32 v23, 0
	s_and_saveexec_b64 s[18:19], vcc
	s_cbranch_execz .LBB2_446
; %bb.439:                              ;   in Loop: Header=BB2_282 Depth=3
	v_lshrrev_b32_e32 v40, 24, v54
	v_cmp_ne_u32_e32 vcc, s66, v40
	v_bfrev_b32_e32 v23, 1
	s_and_saveexec_b64 s[48:49], vcc
	s_cbranch_execz .LBB2_445
; %bb.440:                              ;   in Loop: Header=BB2_282 Depth=3
	v_and_b32_e32 v12, 0x7c000000, v54
	v_bfe_u32 v36, v54, 24, 2
	v_cmp_ne_u32_e32 vcc, s70, v12
                                        ; implicit-def: $vgpr23
	s_and_saveexec_b64 s[50:51], vcc
	s_xor_b64 s[50:51], exec, s[50:51]
	s_cbranch_execz .LBB2_442
; %bb.441:                              ;   in Loop: Header=BB2_282 Depth=3
	v_ffbh_u32_e32 v13, v36
	v_bfe_u32 v12, v54, 26, 5
	v_min_u32_e32 v13, 32, v13
	v_subrev_u32_e32 v14, 29, v13
	v_sub_u32_e32 v13, 30, v13
	v_cmp_eq_u32_e32 vcc, 0, v12
	v_lshlrev_b64 v[38:39], v14, v[40:41]
	v_cndmask_b32_e32 v12, v12, v13, vcc
	v_and_b32_e32 v14, 3, v38
	v_lshl_add_u32 v12, v12, 23, v7
	v_cndmask_b32_e32 v13, v36, v14, vcc
	v_and_or_b32 v12, v54, s65, v12
	v_lshl_or_b32 v23, v13, 21, v12
                                        ; implicit-def: $vgpr36
.LBB2_442:                              ;   in Loop: Header=BB2_282 Depth=3
	s_andn2_saveexec_b64 s[50:51], s[50:51]
; %bb.443:                              ;   in Loop: Header=BB2_282 Depth=3
	v_cmp_lt_i32_e32 vcc, -1, v54
	v_cndmask_b32_e32 v12, v24, v25, vcc
	v_cmp_eq_u32_e32 vcc, 0, v36
	v_cndmask_b32_e32 v23, v6, v12, vcc
; %bb.444:                              ;   in Loop: Header=BB2_282 Depth=3
	s_or_b64 exec, exec, s[50:51]
.LBB2_445:                              ;   in Loop: Header=BB2_282 Depth=3
	s_or_b64 exec, exec, s[48:49]
.LBB2_446:                              ;   in Loop: Header=BB2_282 Depth=3
	s_or_b64 exec, exec, s[18:19]
	v_mul_f32_e32 v37, v62, v23
	v_and_b32_sdwa v23, v37, s66 dst_sel:DWORD dst_unused:UNUSED_PAD src0_sel:BYTE_3 src1_sel:DWORD
	v_and_b32_e32 v38, 0x7f800000, v37
	v_mov_b32_e32 v39, v55
	v_and_b32_e32 v54, 0x7fffff, v37
	v_or_b32_e32 v36, 0x7b, v23
	v_cmp_ne_u64_e32 vcc, s[38:39], v[38:39]
	s_and_saveexec_b64 s[18:19], vcc
	s_xor_b64 s[48:49], exec, s[18:19]
	s_cbranch_execz .LBB2_456
; %bb.447:                              ;   in Loop: Header=BB2_282 Depth=3
	v_and_b32_e32 v38, 0x7fffffff, v37
	v_mov_b32_e32 v39, v55
	v_cmp_gt_u64_e32 vcc, s[40:41], v[38:39]
	s_and_saveexec_b64 s[50:51], vcc
	s_cbranch_execz .LBB2_455
; %bb.448:                              ;   in Loop: Header=BB2_282 Depth=3
	v_cmp_ne_u32_e32 vcc, 0, v37
	v_mov_b32_e32 v36, 0
	s_and_saveexec_b64 s[52:53], vcc
	s_cbranch_execz .LBB2_454
; %bb.449:                              ;   in Loop: Header=BB2_282 Depth=3
	v_bfe_u32 v12, v37, 23, 8
	v_sub_u32_e32 v14, 0x71, v12
	v_cmp_gt_u32_e32 vcc, s67, v12
	v_add_u32_e32 v13, 0xffffff81, v12
	v_cndmask_b32_e32 v14, 0, v14, vcc
	v_cmp_eq_u32_e32 vcc, 0, v12
	v_cndmask_b32_e32 v12, v13, v48, vcc
	v_cndmask_b32_e32 v13, v14, v49, vcc
	v_add_u32_e32 v14, 21, v13
	v_or_b32_e32 v15, 0x800000, v54
	v_lshlrev_b64 v[36:37], v14, -1
	v_cndmask_b32_e32 v54, v15, v54, vcc
	v_not_b32_e32 v14, v37
	v_and_b32_e32 v39, 0, v14
	v_add_u32_e32 v14, 20, v13
	v_lshrrev_b64 v[40:41], v13, v[54:55]
	v_not_b32_e32 v15, v36
	v_lshlrev_b64 v[50:51], v14, 1
	v_lshrrev_b32_e32 v14, 23, v40
	v_and_b32_e32 v38, v54, v15
	v_add3_u32 v54, v13, v12, v14
	v_bfe_u32 v12, v40, 21, 1
	v_add_u32_e32 v12, -1, v12
	v_cmp_eq_u64_e32 vcc, v[38:39], v[50:51]
	v_cndmask_b32_e32 v12, 0, v12, vcc
	v_add_u32_e32 v12, v12, v40
	v_and_b32_e32 v12, 0x1fffff, v12
	v_add_co_u32_e32 v40, vcc, v12, v40
	v_add_u32_e32 v37, 14, v54
	v_addc_co_u32_e32 v41, vcc, 0, v41, vcc
	v_cmp_ne_u32_e32 vcc, 0, v37
                                        ; implicit-def: $vgpr36
	s_and_saveexec_b64 s[18:19], vcc
	s_xor_b64 s[18:19], exec, s[18:19]
; %bb.450:                              ;   in Loop: Header=BB2_282 Depth=3
	v_add_u32_e32 v12, 15, v54
	v_cmp_lt_u64_e32 vcc, s[42:43], v[40:41]
	v_cndmask_b32_e32 v36, v37, v12, vcc
	v_cndmask_b32_e64 v12, 0, 1, vcc
	v_lshrrev_b64 v[40:41], v12, v[40:41]
; %bb.451:                              ;   in Loop: Header=BB2_282 Depth=3
	s_andn2_saveexec_b64 s[18:19], s[18:19]
; %bb.452:                              ;   in Loop: Header=BB2_282 Depth=3
	v_bfe_u32 v36, v40, 23, 1
; %bb.453:                              ;   in Loop: Header=BB2_282 Depth=3
	s_or_b64 exec, exec, s[18:19]
	v_lshrrev_b64 v[38:39], 21, v[40:41]
	v_cmp_gt_i32_e32 vcc, 32, v36
	v_min_i32_e32 v12, 31, v36
	v_cndmask_b32_e32 v39, 0, v39, vcc
	v_cndmask_b32_e32 v38, 3, v38, vcc
	v_lshlrev_b32_e32 v12, 2, v12
	v_cmp_eq_u32_e32 vcc, 0, v36
	v_cmp_eq_u64_e64 s[18:19], 0, v[38:39]
	v_and_b32_e32 v12, 0xfc, v12
	v_and_or_b32 v12, v38, 3, v12
	s_and_b64 s[18:19], vcc, s[18:19]
	v_cndmask_b32_e64 v12, v12, 0, s[18:19]
	v_or_b32_e32 v36, v12, v23
.LBB2_454:                              ;   in Loop: Header=BB2_282 Depth=3
	s_or_b64 exec, exec, s[52:53]
.LBB2_455:                              ;   in Loop: Header=BB2_282 Depth=3
	s_or_b64 exec, exec, s[50:51]
                                        ; implicit-def: $vgpr37
.LBB2_456:                              ;   in Loop: Header=BB2_282 Depth=3
	s_andn2_saveexec_b64 s[18:19], s[48:49]
; %bb.457:                              ;   in Loop: Header=BB2_282 Depth=3
	v_or_b32_sdwa v12, v37, s68 dst_sel:DWORD dst_unused:UNUSED_PAD src0_sel:BYTE_3 src1_sel:DWORD
	v_cmp_eq_u64_e32 vcc, 0, v[54:55]
	v_cndmask_b32_e32 v36, v12, v36, vcc
; %bb.458:                              ;   in Loop: Header=BB2_282 Depth=3
	s_or_b64 exec, exec, s[18:19]
	s_waitcnt vmcnt(0)
	v_cmp_ne_u16_sdwa vcc, v16, v55 src0_sel:BYTE_0 src1_sel:DWORD
	v_mov_b32_e32 v37, 0
	v_mov_b32_e32 v23, 0
	s_and_saveexec_b64 s[18:19], vcc
	s_cbranch_execz .LBB2_466
; %bb.459:                              ;   in Loop: Header=BB2_282 Depth=3
	v_cmp_ne_u16_sdwa vcc, sext(v16), s63 src0_sel:BYTE_0 src1_sel:DWORD
	v_bfrev_b32_e32 v23, 1
	s_and_saveexec_b64 s[48:49], vcc
	s_cbranch_execz .LBB2_465
; %bb.460:                              ;   in Loop: Header=BB2_282 Depth=3
	v_and_b32_e32 v12, 0x7c, v16
	v_and_b32_e32 v54, 3, v16
	v_cmp_ne_u32_e32 vcc, s64, v12
                                        ; implicit-def: $vgpr23
	s_and_saveexec_b64 s[50:51], vcc
	s_xor_b64 s[50:51], exec, s[50:51]
	s_cbranch_execz .LBB2_462
; %bb.461:                              ;   in Loop: Header=BB2_282 Depth=3
	v_ffbh_u32_e32 v13, v54
	v_min_u32_e32 v13, 32, v13
	v_bfe_u32 v12, v16, 2, 5
	v_subrev_u32_e32 v14, 29, v13
	v_lshlrev_b64 v[38:39], v14, v[16:17]
	v_sub_u32_e32 v13, 30, v13
	v_cmp_eq_u32_e32 vcc, 0, v12
	v_and_b32_e32 v14, 3, v38
	v_cndmask_b32_e32 v12, v12, v13, vcc
	v_cndmask_b32_e32 v13, v54, v14, vcc
	v_lshlrev_b32_e32 v14, 24, v16
	v_lshl_add_u32 v12, v12, 23, v7
	v_and_or_b32 v12, v14, s65, v12
	v_lshl_or_b32 v23, v13, 21, v12
                                        ; implicit-def: $vgpr54
.LBB2_462:                              ;   in Loop: Header=BB2_282 Depth=3
	s_andn2_saveexec_b64 s[50:51], s[50:51]
; %bb.463:                              ;   in Loop: Header=BB2_282 Depth=3
	v_cmp_gt_i16_sdwa vcc, sext(v16), v47 src0_sel:BYTE_0 src1_sel:DWORD
	v_cndmask_b32_e32 v12, v24, v25, vcc
	v_cmp_eq_u32_e32 vcc, 0, v54
	v_cndmask_b32_e32 v23, v6, v12, vcc
; %bb.464:                              ;   in Loop: Header=BB2_282 Depth=3
	s_or_b64 exec, exec, s[50:51]
.LBB2_465:                              ;   in Loop: Header=BB2_282 Depth=3
	s_or_b64 exec, exec, s[48:49]
.LBB2_466:                              ;   in Loop: Header=BB2_282 Depth=3
	s_or_b64 exec, exec, s[18:19]
	v_cmp_ne_u16_sdwa vcc, v10, v55 src0_sel:BYTE_0 src1_sel:DWORD
	s_and_saveexec_b64 s[18:19], vcc
	s_cbranch_execz .LBB2_474
; %bb.467:                              ;   in Loop: Header=BB2_282 Depth=3
	v_cmp_ne_u16_sdwa vcc, sext(v10), s63 src0_sel:BYTE_0 src1_sel:DWORD
	v_bfrev_b32_e32 v37, 1
	s_and_saveexec_b64 s[48:49], vcc
	s_cbranch_execz .LBB2_473
; %bb.468:                              ;   in Loop: Header=BB2_282 Depth=3
	v_and_b32_e32 v12, 0x7c, v10
	v_and_b32_e32 v17, 3, v10
	v_cmp_ne_u32_e32 vcc, s64, v12
                                        ; implicit-def: $vgpr37
	s_and_saveexec_b64 s[50:51], vcc
	s_xor_b64 s[50:51], exec, s[50:51]
	s_cbranch_execz .LBB2_470
; %bb.469:                              ;   in Loop: Header=BB2_282 Depth=3
	v_ffbh_u32_e32 v13, v17
	v_min_u32_e32 v13, 32, v13
	v_bfe_u32 v12, v10, 2, 5
	v_subrev_u32_e32 v14, 29, v13
	v_lshlrev_b64 v[38:39], v14, v[10:11]
	v_sub_u32_e32 v13, 30, v13
	v_cmp_eq_u32_e32 vcc, 0, v12
	v_and_b32_e32 v14, 3, v38
	v_cndmask_b32_e32 v12, v12, v13, vcc
	v_cndmask_b32_e32 v13, v17, v14, vcc
	v_lshlrev_b32_e32 v14, 24, v10
	v_lshl_add_u32 v12, v12, 23, v7
	v_and_or_b32 v12, v14, s65, v12
	v_lshl_or_b32 v37, v13, 21, v12
                                        ; implicit-def: $vgpr17
.LBB2_470:                              ;   in Loop: Header=BB2_282 Depth=3
	s_andn2_saveexec_b64 s[50:51], s[50:51]
; %bb.471:                              ;   in Loop: Header=BB2_282 Depth=3
	v_cmp_gt_i16_sdwa vcc, sext(v10), v47 src0_sel:BYTE_0 src1_sel:DWORD
	v_cndmask_b32_e32 v12, v24, v25, vcc
	v_cmp_eq_u32_e32 vcc, 0, v17
	v_cndmask_b32_e32 v37, v6, v12, vcc
; %bb.472:                              ;   in Loop: Header=BB2_282 Depth=3
	s_or_b64 exec, exec, s[50:51]
.LBB2_473:                              ;   in Loop: Header=BB2_282 Depth=3
	s_or_b64 exec, exec, s[48:49]
.LBB2_474:                              ;   in Loop: Header=BB2_282 Depth=3
	s_or_b64 exec, exec, s[18:19]
	v_add_f32_e32 v37, v23, v37
	v_and_b32_sdwa v23, v37, s66 dst_sel:DWORD dst_unused:UNUSED_PAD src0_sel:BYTE_3 src1_sel:DWORD
	v_and_b32_e32 v38, 0x7f800000, v37
	v_mov_b32_e32 v39, v55
	v_and_b32_e32 v54, 0x7fffff, v37
	v_or_b32_e32 v17, 0x7b, v23
	v_cmp_ne_u64_e32 vcc, s[38:39], v[38:39]
	s_and_saveexec_b64 s[18:19], vcc
	s_xor_b64 s[48:49], exec, s[18:19]
	s_cbranch_execz .LBB2_484
; %bb.475:                              ;   in Loop: Header=BB2_282 Depth=3
	v_and_b32_e32 v38, 0x7fffffff, v37
	v_mov_b32_e32 v39, v55
	v_cmp_gt_u64_e32 vcc, s[40:41], v[38:39]
	s_and_saveexec_b64 s[50:51], vcc
	s_cbranch_execz .LBB2_483
; %bb.476:                              ;   in Loop: Header=BB2_282 Depth=3
	v_cmp_ne_u32_e32 vcc, 0, v37
	v_mov_b32_e32 v17, 0
	s_and_saveexec_b64 s[52:53], vcc
	s_cbranch_execz .LBB2_482
; %bb.477:                              ;   in Loop: Header=BB2_282 Depth=3
	v_bfe_u32 v12, v37, 23, 8
	v_sub_u32_e32 v14, 0x71, v12
	v_cmp_gt_u32_e32 vcc, s67, v12
	v_add_u32_e32 v13, 0xffffff81, v12
	v_cndmask_b32_e32 v14, 0, v14, vcc
	v_cmp_eq_u32_e32 vcc, 0, v12
	v_cndmask_b32_e32 v12, v13, v48, vcc
	v_cndmask_b32_e32 v13, v14, v49, vcc
	v_add_u32_e32 v14, 21, v13
	v_or_b32_e32 v15, 0x800000, v54
	v_lshlrev_b64 v[38:39], v14, -1
	v_cndmask_b32_e32 v54, v15, v54, vcc
	v_not_b32_e32 v14, v39
	v_and_b32_e32 v39, 0, v14
	v_add_u32_e32 v14, 20, v13
	v_lshrrev_b64 v[40:41], v13, v[54:55]
	v_not_b32_e32 v15, v38
	v_lshlrev_b64 v[50:51], v14, 1
	v_lshrrev_b32_e32 v14, 23, v40
	v_and_b32_e32 v38, v54, v15
	v_add3_u32 v54, v13, v12, v14
	v_bfe_u32 v12, v40, 21, 1
	v_add_u32_e32 v12, -1, v12
	v_cmp_eq_u64_e32 vcc, v[38:39], v[50:51]
	v_cndmask_b32_e32 v12, 0, v12, vcc
	v_add_u32_e32 v12, v12, v40
	v_and_b32_e32 v12, 0x1fffff, v12
	v_add_co_u32_e32 v40, vcc, v12, v40
	v_add_u32_e32 v37, 14, v54
	v_addc_co_u32_e32 v41, vcc, 0, v41, vcc
	v_cmp_ne_u32_e32 vcc, 0, v37
                                        ; implicit-def: $vgpr17
	s_and_saveexec_b64 s[18:19], vcc
	s_xor_b64 s[18:19], exec, s[18:19]
; %bb.478:                              ;   in Loop: Header=BB2_282 Depth=3
	v_add_u32_e32 v12, 15, v54
	v_cmp_lt_u64_e32 vcc, s[42:43], v[40:41]
	v_cndmask_b32_e32 v17, v37, v12, vcc
	v_cndmask_b32_e64 v12, 0, 1, vcc
	v_lshrrev_b64 v[40:41], v12, v[40:41]
; %bb.479:                              ;   in Loop: Header=BB2_282 Depth=3
	s_andn2_saveexec_b64 s[18:19], s[18:19]
; %bb.480:                              ;   in Loop: Header=BB2_282 Depth=3
	v_bfe_u32 v17, v40, 23, 1
; %bb.481:                              ;   in Loop: Header=BB2_282 Depth=3
	s_or_b64 exec, exec, s[18:19]
	v_lshrrev_b64 v[38:39], 21, v[40:41]
	v_cmp_gt_i32_e32 vcc, 32, v17
	v_cndmask_b32_e32 v39, 0, v39, vcc
	v_cndmask_b32_e32 v38, 3, v38, vcc
	v_min_i32_e32 v12, 31, v17
	v_cmp_eq_u32_e32 vcc, 0, v17
	v_cmp_eq_u64_e64 s[18:19], 0, v[38:39]
	v_lshlrev_b32_e32 v12, 2, v12
	v_and_or_b32 v12, v38, 3, v12
	s_and_b64 s[18:19], vcc, s[18:19]
	v_cndmask_b32_e64 v12, v12, 0, s[18:19]
	v_or_b32_e32 v17, v12, v23
.LBB2_482:                              ;   in Loop: Header=BB2_282 Depth=3
	s_or_b64 exec, exec, s[52:53]
.LBB2_483:                              ;   in Loop: Header=BB2_282 Depth=3
	s_or_b64 exec, exec, s[50:51]
                                        ; implicit-def: $vgpr37
.LBB2_484:                              ;   in Loop: Header=BB2_282 Depth=3
	s_andn2_saveexec_b64 s[18:19], s[48:49]
; %bb.485:                              ;   in Loop: Header=BB2_282 Depth=3
	v_or_b32_sdwa v12, v37, s68 dst_sel:DWORD dst_unused:UNUSED_PAD src0_sel:BYTE_3 src1_sel:DWORD
	v_cmp_eq_u64_e32 vcc, 0, v[54:55]
	v_cndmask_b32_e32 v17, v12, v17, vcc
; %bb.486:                              ;   in Loop: Header=BB2_282 Depth=3
	s_or_b64 exec, exec, s[18:19]
	v_lshrrev_b16_e32 v54, 8, v16
	v_cmp_ne_u16_e32 vcc, 0, v54
	v_mov_b32_e32 v23, 0
	v_mov_b32_e32 v37, 0
	s_and_saveexec_b64 s[18:19], vcc
	s_cbranch_execz .LBB2_494
; %bb.487:                              ;   in Loop: Header=BB2_282 Depth=3
	v_cmp_ne_u16_e32 vcc, s66, v54
	v_bfrev_b32_e32 v37, 1
	s_and_saveexec_b64 s[48:49], vcc
	s_cbranch_execz .LBB2_493
; %bb.488:                              ;   in Loop: Header=BB2_282 Depth=3
	v_and_b32_e32 v12, 0x7c, v54
	v_and_b32_e32 v40, 3, v54
	v_cmp_ne_u32_e32 vcc, s64, v12
                                        ; implicit-def: $vgpr37
	s_and_saveexec_b64 s[50:51], vcc
	s_xor_b64 s[50:51], exec, s[50:51]
	s_cbranch_execz .LBB2_490
; %bb.489:                              ;   in Loop: Header=BB2_282 Depth=3
	v_ffbh_u32_e32 v13, v40
	v_min_u32_e32 v13, 32, v13
	v_bfe_u32 v12, v54, 2, 5
	v_subrev_u32_e32 v14, 29, v13
	v_lshlrev_b64 v[38:39], v14, v[54:55]
	v_sub_u32_e32 v13, 30, v13
	v_cmp_eq_u32_e32 vcc, 0, v12
	v_and_b32_e32 v14, 3, v38
	v_cndmask_b32_e32 v12, v12, v13, vcc
	v_cndmask_b32_e32 v13, v40, v14, vcc
	v_lshlrev_b32_e32 v14, 16, v16
	v_lshl_add_u32 v12, v12, 23, v7
	v_and_or_b32 v12, v14, s65, v12
	v_lshl_or_b32 v37, v13, 21, v12
                                        ; implicit-def: $vgpr40
.LBB2_490:                              ;   in Loop: Header=BB2_282 Depth=3
	s_andn2_saveexec_b64 s[50:51], s[50:51]
; %bb.491:                              ;   in Loop: Header=BB2_282 Depth=3
	v_cmp_lt_i16_e32 vcc, -1, v16
	v_cndmask_b32_e32 v12, v24, v25, vcc
	v_cmp_eq_u32_e32 vcc, 0, v40
	v_cndmask_b32_e32 v37, v6, v12, vcc
; %bb.492:                              ;   in Loop: Header=BB2_282 Depth=3
	s_or_b64 exec, exec, s[50:51]
.LBB2_493:                              ;   in Loop: Header=BB2_282 Depth=3
	s_or_b64 exec, exec, s[48:49]
.LBB2_494:                              ;   in Loop: Header=BB2_282 Depth=3
	s_or_b64 exec, exec, s[18:19]
	v_perm_b32 v10, v11, v10, s72
	v_lshrrev_b16_e32 v54, 8, v10
	v_cmp_ne_u16_e32 vcc, 0, v54
	s_and_saveexec_b64 s[18:19], vcc
	s_cbranch_execz .LBB2_502
; %bb.495:                              ;   in Loop: Header=BB2_282 Depth=3
	v_cmp_ne_u16_e32 vcc, s66, v54
	v_bfrev_b32_e32 v23, 1
	s_and_saveexec_b64 s[48:49], vcc
	s_cbranch_execz .LBB2_501
; %bb.496:                              ;   in Loop: Header=BB2_282 Depth=3
	v_and_b32_e32 v12, 0x7c, v54
	v_and_b32_e32 v11, 3, v54
	v_cmp_ne_u32_e32 vcc, s64, v12
                                        ; implicit-def: $vgpr23
	s_and_saveexec_b64 s[50:51], vcc
	s_xor_b64 s[50:51], exec, s[50:51]
	s_cbranch_execz .LBB2_498
; %bb.497:                              ;   in Loop: Header=BB2_282 Depth=3
	v_ffbh_u32_e32 v13, v11
	v_bfe_u32 v12, v54, 2, 5
	v_min_u32_e32 v13, 32, v13
	v_subrev_u32_e32 v14, 29, v13
	v_sub_u32_e32 v13, 30, v13
	v_cmp_eq_u32_e32 vcc, 0, v12
	v_lshlrev_b64 v[38:39], v14, v[54:55]
	v_cndmask_b32_e32 v12, v12, v13, vcc
	v_and_b32_e32 v14, 3, v38
	v_lshlrev_b32_e32 v10, 16, v10
	v_lshl_add_u32 v12, v12, 23, v7
	v_cndmask_b32_e32 v11, v11, v14, vcc
	v_and_or_b32 v10, v10, s65, v12
	v_lshl_or_b32 v23, v11, 21, v10
                                        ; implicit-def: $vgpr11
                                        ; implicit-def: $vgpr10
.LBB2_498:                              ;   in Loop: Header=BB2_282 Depth=3
	s_andn2_saveexec_b64 s[50:51], s[50:51]
; %bb.499:                              ;   in Loop: Header=BB2_282 Depth=3
	v_cmp_lt_i16_e32 vcc, -1, v10
	v_cndmask_b32_e32 v10, v24, v25, vcc
	v_cmp_eq_u32_e32 vcc, 0, v11
	v_cndmask_b32_e32 v23, v6, v10, vcc
; %bb.500:                              ;   in Loop: Header=BB2_282 Depth=3
	s_or_b64 exec, exec, s[50:51]
.LBB2_501:                              ;   in Loop: Header=BB2_282 Depth=3
	s_or_b64 exec, exec, s[48:49]
.LBB2_502:                              ;   in Loop: Header=BB2_282 Depth=3
	s_or_b64 exec, exec, s[18:19]
	v_add_f32_e32 v10, v37, v23
	v_and_b32_sdwa v23, v10, s66 dst_sel:DWORD dst_unused:UNUSED_PAD src0_sel:BYTE_3 src1_sel:DWORD
	v_and_b32_e32 v38, 0x7f800000, v10
	v_mov_b32_e32 v39, v55
	v_and_b32_e32 v54, 0x7fffff, v10
	v_or_b32_e32 v40, 0x7b, v23
	v_cmp_ne_u64_e32 vcc, s[38:39], v[38:39]
	s_and_saveexec_b64 s[18:19], vcc
	s_xor_b64 s[48:49], exec, s[18:19]
	s_cbranch_execz .LBB2_512
; %bb.503:                              ;   in Loop: Header=BB2_282 Depth=3
	v_and_b32_e32 v38, 0x7fffffff, v10
	v_mov_b32_e32 v39, v55
	v_cmp_gt_u64_e32 vcc, s[40:41], v[38:39]
	s_and_saveexec_b64 s[50:51], vcc
	s_cbranch_execz .LBB2_511
; %bb.504:                              ;   in Loop: Header=BB2_282 Depth=3
	v_cmp_ne_u32_e32 vcc, 0, v10
	v_mov_b32_e32 v40, 0
	s_and_saveexec_b64 s[52:53], vcc
	s_cbranch_execz .LBB2_510
; %bb.505:                              ;   in Loop: Header=BB2_282 Depth=3
	v_bfe_u32 v10, v10, 23, 8
	v_sub_u32_e32 v12, 0x71, v10
	v_cmp_gt_u32_e32 vcc, s67, v10
	v_cndmask_b32_e32 v12, 0, v12, vcc
	v_cmp_eq_u32_e32 vcc, 0, v10
	v_or_b32_e32 v13, 0x800000, v54
	v_cndmask_b32_e32 v12, v12, v49, vcc
	v_add_u32_e32 v11, 0xffffff81, v10
	v_cndmask_b32_e32 v54, v13, v54, vcc
	v_add_u32_e32 v10, 21, v12
	v_cndmask_b32_e32 v14, v11, v48, vcc
	v_lshlrev_b64 v[10:11], v10, -1
	v_add_u32_e32 v13, 20, v12
	v_lshrrev_b64 v[50:51], v12, v[54:55]
	v_not_b32_e32 v11, v11
	v_not_b32_e32 v10, v10
	v_lshlrev_b64 v[38:39], v13, 1
	v_lshrrev_b32_e32 v13, 23, v50
	v_and_b32_e32 v11, 0, v11
	v_and_b32_e32 v10, v54, v10
	v_add3_u32 v40, v12, v14, v13
	v_bfe_u32 v12, v50, 21, 1
	v_add_u32_e32 v12, -1, v12
	v_cmp_eq_u64_e32 vcc, v[10:11], v[38:39]
	v_cndmask_b32_e32 v10, 0, v12, vcc
	v_add_u32_e32 v10, v10, v50
	v_and_b32_e32 v10, 0x1fffff, v10
	v_add_co_u32_e32 v10, vcc, v10, v50
	v_add_u32_e32 v54, 14, v40
	v_addc_co_u32_e32 v11, vcc, 0, v51, vcc
	v_cmp_ne_u32_e32 vcc, 0, v54
                                        ; implicit-def: $vgpr37
	s_and_saveexec_b64 s[18:19], vcc
	s_xor_b64 s[18:19], exec, s[18:19]
; %bb.506:                              ;   in Loop: Header=BB2_282 Depth=3
	v_add_u32_e32 v12, 15, v40
	v_cmp_lt_u64_e32 vcc, s[42:43], v[10:11]
	v_cndmask_b32_e32 v37, v54, v12, vcc
	v_cndmask_b32_e64 v12, 0, 1, vcc
	v_lshrrev_b64 v[10:11], v12, v[10:11]
; %bb.507:                              ;   in Loop: Header=BB2_282 Depth=3
	s_andn2_saveexec_b64 s[18:19], s[18:19]
; %bb.508:                              ;   in Loop: Header=BB2_282 Depth=3
	v_bfe_u32 v37, v10, 23, 1
; %bb.509:                              ;   in Loop: Header=BB2_282 Depth=3
	s_or_b64 exec, exec, s[18:19]
	v_lshrrev_b64 v[10:11], 21, v[10:11]
	v_cmp_gt_i32_e32 vcc, 32, v37
	v_cndmask_b32_e32 v11, 0, v11, vcc
	v_cndmask_b32_e32 v10, 3, v10, vcc
	v_cmp_eq_u64_e64 s[18:19], 0, v[10:11]
	v_min_i32_e32 v11, 31, v37
	v_cmp_eq_u32_e32 vcc, 0, v37
	v_lshlrev_b32_e32 v11, 2, v11
	v_and_or_b32 v10, v10, 3, v11
	s_and_b64 s[18:19], vcc, s[18:19]
	v_cndmask_b32_e64 v10, v10, 0, s[18:19]
	v_or_b32_e32 v40, v10, v23
.LBB2_510:                              ;   in Loop: Header=BB2_282 Depth=3
	s_or_b64 exec, exec, s[52:53]
.LBB2_511:                              ;   in Loop: Header=BB2_282 Depth=3
	s_or_b64 exec, exec, s[50:51]
                                        ; implicit-def: $vgpr10
.LBB2_512:                              ;   in Loop: Header=BB2_282 Depth=3
	s_andn2_saveexec_b64 s[18:19], s[48:49]
; %bb.513:                              ;   in Loop: Header=BB2_282 Depth=3
	v_or_b32_sdwa v10, v10, s68 dst_sel:DWORD dst_unused:UNUSED_PAD src0_sel:BYTE_3 src1_sel:DWORD
	v_cmp_eq_u64_e32 vcc, 0, v[54:55]
	v_cndmask_b32_e32 v40, v10, v40, vcc
; %bb.514:                              ;   in Loop: Header=BB2_282 Depth=3
	s_or_b64 exec, exec, s[18:19]
	v_lshrrev_b32_e32 v10, 16, v16
	v_cmp_ne_u16_sdwa vcc, v10, v55 src0_sel:BYTE_0 src1_sel:DWORD
	v_mov_b32_e32 v11, 0
	v_mov_b32_e32 v23, 0
	s_and_saveexec_b64 s[18:19], vcc
	s_cbranch_execz .LBB2_522
; %bb.515:                              ;   in Loop: Header=BB2_282 Depth=3
	v_cmp_ne_u16_sdwa vcc, v10, s66 src0_sel:BYTE_0 src1_sel:DWORD
	v_bfrev_b32_e32 v23, 1
	s_and_saveexec_b64 s[48:49], vcc
	s_cbranch_execz .LBB2_521
; %bb.516:                              ;   in Loop: Header=BB2_282 Depth=3
	v_and_b32_e32 v12, 0x7c0000, v16
	v_bfe_u32 v37, v16, 16, 2
	v_cmp_ne_u32_e32 vcc, s69, v12
                                        ; implicit-def: $vgpr23
	s_and_saveexec_b64 s[50:51], vcc
	s_xor_b64 s[50:51], exec, s[50:51]
	s_cbranch_execz .LBB2_518
; %bb.517:                              ;   in Loop: Header=BB2_282 Depth=3
	v_ffbh_u32_e32 v13, v37
	v_min_u32_e32 v13, 32, v13
	v_bfe_u32 v12, v16, 18, 5
	v_subrev_u32_e32 v14, 29, v13
	v_lshlrev_b64 v[38:39], v14, v[10:11]
	v_sub_u32_e32 v10, 30, v13
	v_cmp_eq_u32_e32 vcc, 0, v12
	v_and_b32_e32 v13, 3, v38
	v_cndmask_b32_e32 v10, v12, v10, vcc
	v_cndmask_b32_e32 v12, v37, v13, vcc
	v_lshlrev_b32_e32 v13, 8, v16
	v_lshl_add_u32 v10, v10, 23, v7
	v_and_or_b32 v10, v13, s65, v10
	v_lshl_or_b32 v23, v12, 21, v10
                                        ; implicit-def: $vgpr37
                                        ; implicit-def: $vgpr10
.LBB2_518:                              ;   in Loop: Header=BB2_282 Depth=3
	s_andn2_saveexec_b64 s[50:51], s[50:51]
; %bb.519:                              ;   in Loop: Header=BB2_282 Depth=3
	v_cmp_gt_i16_sdwa vcc, sext(v10), v47 src0_sel:BYTE_0 src1_sel:DWORD
	v_cndmask_b32_e32 v10, v24, v25, vcc
	v_cmp_eq_u32_e32 vcc, 0, v37
	v_cndmask_b32_e32 v23, v6, v10, vcc
; %bb.520:                              ;   in Loop: Header=BB2_282 Depth=3
	s_or_b64 exec, exec, s[50:51]
.LBB2_521:                              ;   in Loop: Header=BB2_282 Depth=3
	s_or_b64 exec, exec, s[48:49]
.LBB2_522:                              ;   in Loop: Header=BB2_282 Depth=3
	s_or_b64 exec, exec, s[18:19]
	v_cmp_ne_u16_sdwa vcc, v2, v55 src0_sel:BYTE_0 src1_sel:DWORD
	s_and_saveexec_b64 s[18:19], vcc
	s_cbranch_execz .LBB2_530
; %bb.523:                              ;   in Loop: Header=BB2_282 Depth=3
	v_cmp_ne_u16_sdwa vcc, sext(v2), s63 src0_sel:BYTE_0 src1_sel:DWORD
	v_bfrev_b32_e32 v11, 1
	s_and_saveexec_b64 s[48:49], vcc
	s_cbranch_execz .LBB2_529
; %bb.524:                              ;   in Loop: Header=BB2_282 Depth=3
	v_and_b32_e32 v11, 0x7c, v2
	v_and_b32_e32 v10, 3, v2
	v_cmp_ne_u32_e32 vcc, s64, v11
                                        ; implicit-def: $vgpr11
	s_and_saveexec_b64 s[50:51], vcc
	s_xor_b64 s[50:51], exec, s[50:51]
	s_cbranch_execz .LBB2_526
; %bb.525:                              ;   in Loop: Header=BB2_282 Depth=3
	v_ffbh_u32_e32 v12, v10
	v_bfe_u32 v11, v2, 2, 5
	v_min_u32_e32 v12, 32, v12
	v_subrev_u32_e32 v13, 29, v12
	v_sub_u32_e32 v12, 30, v12
	v_cmp_eq_u32_e32 vcc, 0, v11
	v_lshlrev_b64 v[38:39], v13, v[2:3]
	v_cndmask_b32_e32 v11, v11, v12, vcc
	v_and_b32_e32 v13, 3, v38
	v_lshlrev_b32_e32 v12, 24, v2
	v_lshl_add_u32 v11, v11, 23, v7
	v_cndmask_b32_e32 v10, v10, v13, vcc
	v_and_or_b32 v11, v12, s65, v11
	v_lshl_or_b32 v11, v10, 21, v11
                                        ; implicit-def: $vgpr10
.LBB2_526:                              ;   in Loop: Header=BB2_282 Depth=3
	s_andn2_saveexec_b64 s[50:51], s[50:51]
; %bb.527:                              ;   in Loop: Header=BB2_282 Depth=3
	v_cmp_gt_i16_sdwa vcc, sext(v2), v47 src0_sel:BYTE_0 src1_sel:DWORD
	v_cndmask_b32_e32 v11, v24, v25, vcc
	v_cmp_eq_u32_e32 vcc, 0, v10
	v_cndmask_b32_e32 v11, v6, v11, vcc
; %bb.528:                              ;   in Loop: Header=BB2_282 Depth=3
	s_or_b64 exec, exec, s[50:51]
.LBB2_529:                              ;   in Loop: Header=BB2_282 Depth=3
	s_or_b64 exec, exec, s[48:49]
.LBB2_530:                              ;   in Loop: Header=BB2_282 Depth=3
	s_or_b64 exec, exec, s[18:19]
	v_add_f32_e32 v10, v23, v11
	v_and_b32_sdwa v37, v10, s66 dst_sel:DWORD dst_unused:UNUSED_PAD src0_sel:BYTE_3 src1_sel:DWORD
	v_and_b32_e32 v38, 0x7f800000, v10
	v_mov_b32_e32 v39, v55
	v_and_b32_e32 v54, 0x7fffff, v10
	v_or_b32_e32 v23, 0x7b, v37
	v_cmp_ne_u64_e32 vcc, s[38:39], v[38:39]
	s_and_saveexec_b64 s[18:19], vcc
	s_xor_b64 s[48:49], exec, s[18:19]
	s_cbranch_execz .LBB2_540
; %bb.531:                              ;   in Loop: Header=BB2_282 Depth=3
	v_and_b32_e32 v38, 0x7fffffff, v10
	v_mov_b32_e32 v39, v55
	v_cmp_gt_u64_e32 vcc, s[40:41], v[38:39]
	s_and_saveexec_b64 s[50:51], vcc
	s_cbranch_execz .LBB2_539
; %bb.532:                              ;   in Loop: Header=BB2_282 Depth=3
	v_cmp_ne_u32_e32 vcc, 0, v10
	v_mov_b32_e32 v23, 0
	s_and_saveexec_b64 s[52:53], vcc
	s_cbranch_execz .LBB2_538
; %bb.533:                              ;   in Loop: Header=BB2_282 Depth=3
	v_bfe_u32 v10, v10, 23, 8
	v_sub_u32_e32 v12, 0x71, v10
	v_cmp_gt_u32_e32 vcc, s67, v10
	v_cndmask_b32_e32 v12, 0, v12, vcc
	v_cmp_eq_u32_e32 vcc, 0, v10
	v_or_b32_e32 v13, 0x800000, v54
	v_cndmask_b32_e32 v12, v12, v49, vcc
	v_add_u32_e32 v11, 0xffffff81, v10
	v_cndmask_b32_e32 v54, v13, v54, vcc
	v_add_u32_e32 v10, 21, v12
	v_cndmask_b32_e32 v14, v11, v48, vcc
	v_lshlrev_b64 v[10:11], v10, -1
	v_add_u32_e32 v13, 20, v12
	v_lshrrev_b64 v[50:51], v12, v[54:55]
	v_not_b32_e32 v11, v11
	v_not_b32_e32 v10, v10
	v_lshlrev_b64 v[38:39], v13, 1
	v_lshrrev_b32_e32 v13, 23, v50
	v_and_b32_e32 v11, 0, v11
	v_and_b32_e32 v10, v54, v10
	v_add3_u32 v41, v12, v14, v13
	v_bfe_u32 v12, v50, 21, 1
	v_add_u32_e32 v12, -1, v12
	v_cmp_eq_u64_e32 vcc, v[10:11], v[38:39]
	v_cndmask_b32_e32 v10, 0, v12, vcc
	v_add_u32_e32 v10, v10, v50
	v_and_b32_e32 v10, 0x1fffff, v10
	v_add_co_u32_e32 v10, vcc, v10, v50
	v_add_u32_e32 v54, 14, v41
	v_addc_co_u32_e32 v11, vcc, 0, v51, vcc
	v_cmp_ne_u32_e32 vcc, 0, v54
                                        ; implicit-def: $vgpr23
	s_and_saveexec_b64 s[18:19], vcc
	s_xor_b64 s[18:19], exec, s[18:19]
; %bb.534:                              ;   in Loop: Header=BB2_282 Depth=3
	v_add_u32_e32 v12, 15, v41
	v_cmp_lt_u64_e32 vcc, s[42:43], v[10:11]
	v_cndmask_b32_e32 v23, v54, v12, vcc
	v_cndmask_b32_e64 v12, 0, 1, vcc
	v_lshrrev_b64 v[10:11], v12, v[10:11]
; %bb.535:                              ;   in Loop: Header=BB2_282 Depth=3
	s_andn2_saveexec_b64 s[18:19], s[18:19]
; %bb.536:                              ;   in Loop: Header=BB2_282 Depth=3
	v_bfe_u32 v23, v10, 23, 1
; %bb.537:                              ;   in Loop: Header=BB2_282 Depth=3
	s_or_b64 exec, exec, s[18:19]
	v_lshrrev_b64 v[10:11], 21, v[10:11]
	v_cmp_gt_i32_e32 vcc, 32, v23
	v_cndmask_b32_e32 v11, 0, v11, vcc
	v_cndmask_b32_e32 v10, 3, v10, vcc
	v_cmp_eq_u64_e64 s[18:19], 0, v[10:11]
	v_min_i32_e32 v11, 31, v23
	v_cmp_eq_u32_e32 vcc, 0, v23
	v_lshlrev_b32_e32 v11, 2, v11
	v_and_or_b32 v10, v10, 3, v11
	s_and_b64 s[18:19], vcc, s[18:19]
	v_cndmask_b32_e64 v10, v10, 0, s[18:19]
	v_or_b32_e32 v23, v10, v37
.LBB2_538:                              ;   in Loop: Header=BB2_282 Depth=3
	s_or_b64 exec, exec, s[52:53]
.LBB2_539:                              ;   in Loop: Header=BB2_282 Depth=3
	s_or_b64 exec, exec, s[50:51]
                                        ; implicit-def: $vgpr10
.LBB2_540:                              ;   in Loop: Header=BB2_282 Depth=3
	s_andn2_saveexec_b64 s[18:19], s[48:49]
; %bb.541:                              ;   in Loop: Header=BB2_282 Depth=3
	v_or_b32_sdwa v10, v10, s68 dst_sel:DWORD dst_unused:UNUSED_PAD src0_sel:BYTE_3 src1_sel:DWORD
	v_cmp_eq_u64_e32 vcc, 0, v[54:55]
	v_cndmask_b32_e32 v23, v10, v23, vcc
; %bb.542:                              ;   in Loop: Header=BB2_282 Depth=3
	s_or_b64 exec, exec, s[18:19]
	v_cmp_lt_u32_e32 vcc, s37, v16
	v_mov_b32_e32 v37, 0
	v_mov_b32_e32 v11, 0
	s_and_saveexec_b64 s[18:19], vcc
	s_cbranch_execz .LBB2_550
; %bb.543:                              ;   in Loop: Header=BB2_282 Depth=3
	v_lshrrev_b32_e32 v10, 24, v16
	v_cmp_ne_u32_e32 vcc, s66, v10
	v_bfrev_b32_e32 v11, 1
	s_and_saveexec_b64 s[48:49], vcc
	s_cbranch_execz .LBB2_549
; %bb.544:                              ;   in Loop: Header=BB2_282 Depth=3
	v_and_b32_e32 v11, 0x7c000000, v16
	v_bfe_u32 v54, v16, 24, 2
	v_cmp_ne_u32_e32 vcc, s70, v11
                                        ; implicit-def: $vgpr11
	s_and_saveexec_b64 s[50:51], vcc
	s_xor_b64 s[50:51], exec, s[50:51]
	s_cbranch_execz .LBB2_546
; %bb.545:                              ;   in Loop: Header=BB2_282 Depth=3
	v_ffbh_u32_e32 v11, v54
	v_min_u32_e32 v13, 32, v11
	v_subrev_u32_e32 v11, 29, v13
	v_bfe_u32 v12, v16, 26, 5
	v_lshlrev_b64 v[10:11], v11, v[10:11]
	v_sub_u32_e32 v11, 30, v13
	v_cmp_eq_u32_e32 vcc, 0, v12
	v_cndmask_b32_e32 v11, v12, v11, vcc
	v_and_b32_e32 v10, 3, v10
	v_lshl_add_u32 v11, v11, 23, v7
	v_cndmask_b32_e32 v10, v54, v10, vcc
	v_and_or_b32 v11, v16, s65, v11
	v_lshl_or_b32 v11, v10, 21, v11
                                        ; implicit-def: $vgpr54
.LBB2_546:                              ;   in Loop: Header=BB2_282 Depth=3
	s_andn2_saveexec_b64 s[50:51], s[50:51]
; %bb.547:                              ;   in Loop: Header=BB2_282 Depth=3
	v_cmp_lt_i32_e32 vcc, -1, v16
	v_cndmask_b32_e32 v10, v24, v25, vcc
	v_cmp_eq_u32_e32 vcc, 0, v54
	v_cndmask_b32_e32 v11, v6, v10, vcc
; %bb.548:                              ;   in Loop: Header=BB2_282 Depth=3
	s_or_b64 exec, exec, s[50:51]
.LBB2_549:                              ;   in Loop: Header=BB2_282 Depth=3
	s_or_b64 exec, exec, s[48:49]
.LBB2_550:                              ;   in Loop: Header=BB2_282 Depth=3
	s_or_b64 exec, exec, s[18:19]
	v_lshlrev_b32_e32 v16, 8, v27
	v_and_b32_e32 v54, 0xff00, v16
	v_cmp_ne_u32_e32 vcc, 0, v54
	s_and_saveexec_b64 s[18:19], vcc
	s_cbranch_execz .LBB2_558
; %bb.551:                              ;   in Loop: Header=BB2_282 Depth=3
	v_cmp_ne_u32_e32 vcc, s74, v54
	v_bfrev_b32_e32 v37, 1
	s_and_saveexec_b64 s[48:49], vcc
	s_cbranch_execz .LBB2_557
; %bb.552:                              ;   in Loop: Header=BB2_282 Depth=3
	v_and_or_b32 v2, v2, s62, v54
	v_and_b32_e32 v12, 0x7c, v27
	v_bfe_u32 v10, v54, 8, 2
	v_lshlrev_b32_e32 v2, 16, v2
	v_cmp_ne_u32_e32 vcc, s64, v12
                                        ; implicit-def: $vgpr37
	s_and_saveexec_b64 s[50:51], vcc
	s_xor_b64 s[50:51], exec, s[50:51]
	s_cbranch_execz .LBB2_554
; %bb.553:                              ;   in Loop: Header=BB2_282 Depth=3
	v_ffbh_u32_e32 v13, v10
	v_bfe_u32 v12, v16, 10, 5
	v_min_u32_e32 v13, 32, v13
	v_lshrrev_b32_e32 v38, 8, v54
	v_subrev_u32_e32 v14, 29, v13
	v_sub_u32_e32 v13, 30, v13
	v_cmp_eq_u32_e32 vcc, 0, v12
	v_lshlrev_b64 v[38:39], v14, v[38:39]
	v_cndmask_b32_e32 v12, v12, v13, vcc
	v_and_b32_e32 v14, 3, v38
	v_lshl_add_u32 v12, v12, 23, v7
	v_cndmask_b32_e32 v10, v10, v14, vcc
	v_and_or_b32 v2, v2, s65, v12
	v_lshl_or_b32 v37, v10, 21, v2
                                        ; implicit-def: $vgpr10
                                        ; implicit-def: $vgpr2
.LBB2_554:                              ;   in Loop: Header=BB2_282 Depth=3
	s_andn2_saveexec_b64 s[50:51], s[50:51]
; %bb.555:                              ;   in Loop: Header=BB2_282 Depth=3
	v_cmp_lt_i32_e32 vcc, -1, v2
	v_cndmask_b32_e32 v2, v24, v25, vcc
	v_cmp_eq_u32_e32 vcc, 0, v10
	v_cndmask_b32_e32 v37, v6, v2, vcc
; %bb.556:                              ;   in Loop: Header=BB2_282 Depth=3
	s_or_b64 exec, exec, s[50:51]
.LBB2_557:                              ;   in Loop: Header=BB2_282 Depth=3
	s_or_b64 exec, exec, s[48:49]
.LBB2_558:                              ;   in Loop: Header=BB2_282 Depth=3
	s_or_b64 exec, exec, s[18:19]
	v_add_f32_e32 v10, v11, v37
	v_and_b32_sdwa v2, v10, s66 dst_sel:DWORD dst_unused:UNUSED_PAD src0_sel:BYTE_3 src1_sel:DWORD
	v_and_b32_e32 v38, 0x7f800000, v10
	v_mov_b32_e32 v39, v55
	v_and_b32_e32 v54, 0x7fffff, v10
	v_or_b32_e32 v16, 0x7b, v2
	v_cmp_ne_u64_e32 vcc, s[38:39], v[38:39]
	s_and_saveexec_b64 s[18:19], vcc
	s_xor_b64 s[48:49], exec, s[18:19]
	s_cbranch_execz .LBB2_568
; %bb.559:                              ;   in Loop: Header=BB2_282 Depth=3
	v_and_b32_e32 v38, 0x7fffffff, v10
	v_mov_b32_e32 v39, v55
	v_cmp_gt_u64_e32 vcc, s[40:41], v[38:39]
	s_and_saveexec_b64 s[50:51], vcc
	s_cbranch_execz .LBB2_567
; %bb.560:                              ;   in Loop: Header=BB2_282 Depth=3
	v_cmp_ne_u32_e32 vcc, 0, v10
	v_mov_b32_e32 v16, 0
	s_and_saveexec_b64 s[52:53], vcc
	s_cbranch_execz .LBB2_566
; %bb.561:                              ;   in Loop: Header=BB2_282 Depth=3
	v_bfe_u32 v10, v10, 23, 8
	v_sub_u32_e32 v12, 0x71, v10
	v_cmp_gt_u32_e32 vcc, s67, v10
	v_cndmask_b32_e32 v12, 0, v12, vcc
	v_cmp_eq_u32_e32 vcc, 0, v10
	v_or_b32_e32 v13, 0x800000, v54
	v_cndmask_b32_e32 v12, v12, v49, vcc
	v_add_u32_e32 v11, 0xffffff81, v10
	v_cndmask_b32_e32 v54, v13, v54, vcc
	v_add_u32_e32 v10, 21, v12
	v_cndmask_b32_e32 v14, v11, v48, vcc
	v_lshlrev_b64 v[10:11], v10, -1
	v_add_u32_e32 v13, 20, v12
	v_lshrrev_b64 v[50:51], v12, v[54:55]
	v_not_b32_e32 v11, v11
	v_not_b32_e32 v10, v10
	v_lshlrev_b64 v[38:39], v13, 1
	v_lshrrev_b32_e32 v13, 23, v50
	v_and_b32_e32 v11, 0, v11
	v_and_b32_e32 v10, v54, v10
	v_add3_u32 v37, v12, v14, v13
	v_bfe_u32 v12, v50, 21, 1
	v_add_u32_e32 v12, -1, v12
	v_cmp_eq_u64_e32 vcc, v[10:11], v[38:39]
	v_cndmask_b32_e32 v10, 0, v12, vcc
	v_add_u32_e32 v10, v10, v50
	v_and_b32_e32 v10, 0x1fffff, v10
	v_add_co_u32_e32 v10, vcc, v10, v50
	v_add_u32_e32 v27, 14, v37
	v_addc_co_u32_e32 v11, vcc, 0, v51, vcc
	v_cmp_ne_u32_e32 vcc, 0, v27
                                        ; implicit-def: $vgpr16
	s_and_saveexec_b64 s[18:19], vcc
	s_xor_b64 s[18:19], exec, s[18:19]
; %bb.562:                              ;   in Loop: Header=BB2_282 Depth=3
	v_add_u32_e32 v12, 15, v37
	v_cmp_lt_u64_e32 vcc, s[42:43], v[10:11]
	v_cndmask_b32_e32 v16, v27, v12, vcc
	v_cndmask_b32_e64 v12, 0, 1, vcc
	v_lshrrev_b64 v[10:11], v12, v[10:11]
; %bb.563:                              ;   in Loop: Header=BB2_282 Depth=3
	s_andn2_saveexec_b64 s[18:19], s[18:19]
; %bb.564:                              ;   in Loop: Header=BB2_282 Depth=3
	v_bfe_u32 v16, v10, 23, 1
; %bb.565:                              ;   in Loop: Header=BB2_282 Depth=3
	s_or_b64 exec, exec, s[18:19]
	v_lshrrev_b64 v[10:11], 21, v[10:11]
	v_cmp_gt_i32_e32 vcc, 32, v16
	v_cndmask_b32_e32 v11, 0, v11, vcc
	v_cndmask_b32_e32 v10, 3, v10, vcc
	v_cmp_eq_u64_e64 s[18:19], 0, v[10:11]
	v_min_i32_e32 v11, 31, v16
	v_cmp_eq_u32_e32 vcc, 0, v16
	v_lshlrev_b32_e32 v11, 2, v11
	v_and_or_b32 v10, v10, 3, v11
	s_and_b64 s[18:19], vcc, s[18:19]
	v_cndmask_b32_e64 v10, v10, 0, s[18:19]
	v_or_b32_e32 v16, v10, v2
.LBB2_566:                              ;   in Loop: Header=BB2_282 Depth=3
	s_or_b64 exec, exec, s[52:53]
.LBB2_567:                              ;   in Loop: Header=BB2_282 Depth=3
	s_or_b64 exec, exec, s[50:51]
                                        ; implicit-def: $vgpr10
.LBB2_568:                              ;   in Loop: Header=BB2_282 Depth=3
	s_andn2_saveexec_b64 s[18:19], s[48:49]
; %bb.569:                              ;   in Loop: Header=BB2_282 Depth=3
	v_or_b32_sdwa v2, v10, s68 dst_sel:DWORD dst_unused:UNUSED_PAD src0_sel:BYTE_3 src1_sel:DWORD
	v_cmp_eq_u64_e32 vcc, 0, v[54:55]
	v_cndmask_b32_e32 v16, v2, v16, vcc
; %bb.570:                              ;   in Loop: Header=BB2_282 Depth=3
	s_or_b64 exec, exec, s[18:19]
	v_cmp_ne_u16_sdwa vcc, v18, v55 src0_sel:BYTE_0 src1_sel:DWORD
	v_mov_b32_e32 v11, 0
	v_mov_b32_e32 v10, 0
	s_and_saveexec_b64 s[18:19], vcc
	s_cbranch_execz .LBB2_578
; %bb.571:                              ;   in Loop: Header=BB2_282 Depth=3
	v_cmp_ne_u16_sdwa vcc, sext(v18), s63 src0_sel:BYTE_0 src1_sel:DWORD
	v_bfrev_b32_e32 v10, 1
	s_and_saveexec_b64 s[48:49], vcc
	s_cbranch_execz .LBB2_577
; %bb.572:                              ;   in Loop: Header=BB2_282 Depth=3
	v_and_b32_e32 v10, 0x7c, v18
	v_and_b32_e32 v2, 3, v18
	v_cmp_ne_u32_e32 vcc, s64, v10
                                        ; implicit-def: $vgpr10
	s_and_saveexec_b64 s[50:51], vcc
	s_xor_b64 s[50:51], exec, s[50:51]
	s_cbranch_execz .LBB2_574
; %bb.573:                              ;   in Loop: Header=BB2_282 Depth=3
	v_ffbh_u32_e32 v12, v2
	v_bfe_u32 v10, v18, 2, 5
	v_min_u32_e32 v12, 32, v12
	v_subrev_u32_e32 v13, 29, v12
	v_sub_u32_e32 v12, 30, v12
	v_cmp_eq_u32_e32 vcc, 0, v10
	v_lshlrev_b64 v[38:39], v13, v[18:19]
	v_cndmask_b32_e32 v10, v10, v12, vcc
	v_and_b32_e32 v13, 3, v38
	v_lshlrev_b32_e32 v12, 24, v18
	v_lshl_add_u32 v10, v10, 23, v7
	v_cndmask_b32_e32 v2, v2, v13, vcc
	v_and_or_b32 v10, v12, s65, v10
	v_lshl_or_b32 v10, v2, 21, v10
                                        ; implicit-def: $vgpr2
.LBB2_574:                              ;   in Loop: Header=BB2_282 Depth=3
	s_andn2_saveexec_b64 s[50:51], s[50:51]
; %bb.575:                              ;   in Loop: Header=BB2_282 Depth=3
	v_cmp_gt_i16_sdwa vcc, sext(v18), v47 src0_sel:BYTE_0 src1_sel:DWORD
	v_cndmask_b32_e32 v10, v24, v25, vcc
	v_cmp_eq_u32_e32 vcc, 0, v2
	v_cndmask_b32_e32 v10, v6, v10, vcc
; %bb.576:                              ;   in Loop: Header=BB2_282 Depth=3
	s_or_b64 exec, exec, s[50:51]
.LBB2_577:                              ;   in Loop: Header=BB2_282 Depth=3
	s_or_b64 exec, exec, s[48:49]
.LBB2_578:                              ;   in Loop: Header=BB2_282 Depth=3
	s_or_b64 exec, exec, s[18:19]
	v_lshlrev_b32_e32 v2, 8, v22
	v_lshlrev_b32_e32 v22, 24, v36
	v_perm_b32 v2, v2, v26, s71
	v_lshl_or_b32 v27, v1, 16, v22
	v_cmp_ne_u16_sdwa vcc, v26, v55 src0_sel:BYTE_0 src1_sel:DWORD
	s_and_saveexec_b64 s[18:19], vcc
	s_cbranch_execz .LBB2_586
; %bb.579:                              ;   in Loop: Header=BB2_282 Depth=3
	v_cmp_ne_u16_sdwa vcc, sext(v26), s63 src0_sel:BYTE_0 src1_sel:DWORD
	v_bfrev_b32_e32 v11, 1
	s_and_saveexec_b64 s[48:49], vcc
	s_cbranch_execz .LBB2_585
; %bb.580:                              ;   in Loop: Header=BB2_282 Depth=3
	v_and_b32_e32 v11, 0x7c, v26
	v_and_b32_e32 v19, 3, v26
	v_cmp_ne_u32_e32 vcc, s64, v11
                                        ; implicit-def: $vgpr11
	s_and_saveexec_b64 s[50:51], vcc
	s_xor_b64 s[50:51], exec, s[50:51]
	s_cbranch_execz .LBB2_582
; %bb.581:                              ;   in Loop: Header=BB2_282 Depth=3
	v_ffbh_u32_e32 v12, v19
	v_min_u32_e32 v12, 32, v12
	v_bfe_u32 v11, v26, 2, 5
	v_or_b32_e32 v36, v27, v2
	v_subrev_u32_e32 v13, 29, v12
	v_lshlrev_b64 v[36:37], v13, v[36:37]
	v_sub_u32_e32 v12, 30, v12
	v_cmp_eq_u32_e32 vcc, 0, v11
	v_and_b32_e32 v13, 3, v36
	v_cndmask_b32_e32 v11, v11, v12, vcc
	v_cndmask_b32_e32 v12, v19, v13, vcc
	v_lshlrev_b32_e32 v13, 24, v26
	v_lshl_add_u32 v11, v11, 23, v7
	v_and_or_b32 v11, v13, s65, v11
	v_lshl_or_b32 v11, v12, 21, v11
                                        ; implicit-def: $vgpr19
                                        ; implicit-def: $vgpr26
.LBB2_582:                              ;   in Loop: Header=BB2_282 Depth=3
	s_andn2_saveexec_b64 s[50:51], s[50:51]
; %bb.583:                              ;   in Loop: Header=BB2_282 Depth=3
	v_cmp_gt_i16_sdwa vcc, sext(v26), v47 src0_sel:BYTE_0 src1_sel:DWORD
	v_cndmask_b32_e32 v11, v24, v25, vcc
	v_cmp_eq_u32_e32 vcc, 0, v19
	v_cndmask_b32_e32 v11, v6, v11, vcc
; %bb.584:                              ;   in Loop: Header=BB2_282 Depth=3
	s_or_b64 exec, exec, s[50:51]
.LBB2_585:                              ;   in Loop: Header=BB2_282 Depth=3
	s_or_b64 exec, exec, s[48:49]
.LBB2_586:                              ;   in Loop: Header=BB2_282 Depth=3
	s_or_b64 exec, exec, s[18:19]
	v_add_f32_e32 v10, v10, v11
	v_and_b32_sdwa v26, v10, s66 dst_sel:DWORD dst_unused:UNUSED_PAD src0_sel:BYTE_3 src1_sel:DWORD
	v_and_b32_e32 v36, 0x7f800000, v10
	v_mov_b32_e32 v37, v55
	v_and_b32_e32 v54, 0x7fffff, v10
	v_or_b32_e32 v19, 0x7b, v26
	v_cmp_ne_u64_e32 vcc, s[38:39], v[36:37]
	s_and_saveexec_b64 s[18:19], vcc
	s_xor_b64 s[48:49], exec, s[18:19]
	s_cbranch_execz .LBB2_596
; %bb.587:                              ;   in Loop: Header=BB2_282 Depth=3
	v_and_b32_e32 v36, 0x7fffffff, v10
	v_mov_b32_e32 v37, v55
	v_cmp_gt_u64_e32 vcc, s[40:41], v[36:37]
	s_and_saveexec_b64 s[50:51], vcc
	s_cbranch_execz .LBB2_595
; %bb.588:                              ;   in Loop: Header=BB2_282 Depth=3
	v_cmp_ne_u32_e32 vcc, 0, v10
	v_mov_b32_e32 v19, 0
	s_and_saveexec_b64 s[52:53], vcc
	s_cbranch_execz .LBB2_594
; %bb.589:                              ;   in Loop: Header=BB2_282 Depth=3
	v_bfe_u32 v10, v10, 23, 8
	v_sub_u32_e32 v12, 0x71, v10
	v_cmp_gt_u32_e32 vcc, s67, v10
	v_cndmask_b32_e32 v12, 0, v12, vcc
	v_cmp_eq_u32_e32 vcc, 0, v10
	v_or_b32_e32 v13, 0x800000, v54
	v_cndmask_b32_e32 v12, v12, v49, vcc
	v_add_u32_e32 v11, 0xffffff81, v10
	v_cndmask_b32_e32 v54, v13, v54, vcc
	v_add_u32_e32 v10, 21, v12
	v_cndmask_b32_e32 v14, v11, v48, vcc
	v_lshlrev_b64 v[10:11], v10, -1
	v_add_u32_e32 v13, 20, v12
	v_lshrrev_b64 v[50:51], v12, v[54:55]
	v_not_b32_e32 v11, v11
	v_not_b32_e32 v10, v10
	v_lshlrev_b64 v[38:39], v13, 1
	v_lshrrev_b32_e32 v13, 23, v50
	v_and_b32_e32 v11, 0, v11
	v_and_b32_e32 v10, v54, v10
	v_add3_u32 v37, v12, v14, v13
	v_bfe_u32 v12, v50, 21, 1
	v_add_u32_e32 v12, -1, v12
	v_cmp_eq_u64_e32 vcc, v[10:11], v[38:39]
	v_cndmask_b32_e32 v10, 0, v12, vcc
	v_add_u32_e32 v10, v10, v50
	v_and_b32_e32 v10, 0x1fffff, v10
	v_add_co_u32_e32 v10, vcc, v10, v50
	v_add_u32_e32 v36, 14, v37
	v_addc_co_u32_e32 v11, vcc, 0, v51, vcc
	v_cmp_ne_u32_e32 vcc, 0, v36
                                        ; implicit-def: $vgpr19
	s_and_saveexec_b64 s[18:19], vcc
	s_xor_b64 s[18:19], exec, s[18:19]
; %bb.590:                              ;   in Loop: Header=BB2_282 Depth=3
	v_add_u32_e32 v12, 15, v37
	v_cmp_lt_u64_e32 vcc, s[42:43], v[10:11]
	v_cndmask_b32_e32 v19, v36, v12, vcc
	v_cndmask_b32_e64 v12, 0, 1, vcc
	v_lshrrev_b64 v[10:11], v12, v[10:11]
; %bb.591:                              ;   in Loop: Header=BB2_282 Depth=3
	s_andn2_saveexec_b64 s[18:19], s[18:19]
; %bb.592:                              ;   in Loop: Header=BB2_282 Depth=3
	v_bfe_u32 v19, v10, 23, 1
; %bb.593:                              ;   in Loop: Header=BB2_282 Depth=3
	s_or_b64 exec, exec, s[18:19]
	v_lshrrev_b64 v[10:11], 21, v[10:11]
	v_cmp_gt_i32_e32 vcc, 32, v19
	v_cndmask_b32_e32 v11, 0, v11, vcc
	v_cndmask_b32_e32 v10, 3, v10, vcc
	v_cmp_eq_u64_e64 s[18:19], 0, v[10:11]
	v_min_i32_e32 v11, 31, v19
	v_cmp_eq_u32_e32 vcc, 0, v19
	v_lshlrev_b32_e32 v11, 2, v11
	v_and_or_b32 v10, v10, 3, v11
	s_and_b64 s[18:19], vcc, s[18:19]
	v_cndmask_b32_e64 v10, v10, 0, s[18:19]
	v_or_b32_e32 v19, v10, v26
.LBB2_594:                              ;   in Loop: Header=BB2_282 Depth=3
	s_or_b64 exec, exec, s[52:53]
.LBB2_595:                              ;   in Loop: Header=BB2_282 Depth=3
	s_or_b64 exec, exec, s[50:51]
                                        ; implicit-def: $vgpr10
.LBB2_596:                              ;   in Loop: Header=BB2_282 Depth=3
	s_andn2_saveexec_b64 s[18:19], s[48:49]
; %bb.597:                              ;   in Loop: Header=BB2_282 Depth=3
	v_or_b32_sdwa v10, v10, s68 dst_sel:DWORD dst_unused:UNUSED_PAD src0_sel:BYTE_3 src1_sel:DWORD
	v_cmp_eq_u64_e32 vcc, 0, v[54:55]
	v_cndmask_b32_e32 v19, v10, v19, vcc
; %bb.598:                              ;   in Loop: Header=BB2_282 Depth=3
	s_or_b64 exec, exec, s[18:19]
	v_lshrrev_b16_e32 v54, 8, v18
	v_cmp_ne_u16_e32 vcc, 0, v54
	v_mov_b32_e32 v10, 0
	v_mov_b32_e32 v11, 0
	s_and_saveexec_b64 s[18:19], vcc
	s_cbranch_execz .LBB2_606
; %bb.599:                              ;   in Loop: Header=BB2_282 Depth=3
	v_cmp_ne_u16_e32 vcc, s66, v54
	v_bfrev_b32_e32 v11, 1
	s_and_saveexec_b64 s[48:49], vcc
	s_cbranch_execz .LBB2_605
; %bb.600:                              ;   in Loop: Header=BB2_282 Depth=3
	v_and_b32_e32 v11, 0x7c, v54
	v_and_b32_e32 v26, 3, v54
	v_cmp_ne_u32_e32 vcc, s64, v11
                                        ; implicit-def: $vgpr11
	s_and_saveexec_b64 s[50:51], vcc
	s_xor_b64 s[50:51], exec, s[50:51]
	s_cbranch_execz .LBB2_602
; %bb.601:                              ;   in Loop: Header=BB2_282 Depth=3
	v_ffbh_u32_e32 v12, v26
	v_min_u32_e32 v12, 32, v12
	v_bfe_u32 v11, v54, 2, 5
	v_subrev_u32_e32 v13, 29, v12
	v_lshlrev_b64 v[36:37], v13, v[54:55]
	v_sub_u32_e32 v12, 30, v12
	v_cmp_eq_u32_e32 vcc, 0, v11
	v_and_b32_e32 v13, 3, v36
	v_cndmask_b32_e32 v11, v11, v12, vcc
	v_cndmask_b32_e32 v12, v26, v13, vcc
	v_lshlrev_b32_e32 v13, 16, v18
	v_lshl_add_u32 v11, v11, 23, v7
	v_and_or_b32 v11, v13, s65, v11
	v_lshl_or_b32 v11, v12, 21, v11
                                        ; implicit-def: $vgpr26
.LBB2_602:                              ;   in Loop: Header=BB2_282 Depth=3
	s_andn2_saveexec_b64 s[50:51], s[50:51]
; %bb.603:                              ;   in Loop: Header=BB2_282 Depth=3
	v_cmp_lt_i16_e32 vcc, -1, v18
	v_cndmask_b32_e32 v11, v24, v25, vcc
	v_cmp_eq_u32_e32 vcc, 0, v26
	v_cndmask_b32_e32 v11, v6, v11, vcc
; %bb.604:                              ;   in Loop: Header=BB2_282 Depth=3
	s_or_b64 exec, exec, s[50:51]
.LBB2_605:                              ;   in Loop: Header=BB2_282 Depth=3
	s_or_b64 exec, exec, s[48:49]
.LBB2_606:                              ;   in Loop: Header=BB2_282 Depth=3
	s_or_b64 exec, exec, s[18:19]
	v_lshrrev_b16_e32 v54, 8, v2
	v_cmp_ne_u16_e32 vcc, 0, v54
	s_and_saveexec_b64 s[18:19], vcc
	s_cbranch_execz .LBB2_614
; %bb.607:                              ;   in Loop: Header=BB2_282 Depth=3
	v_cmp_ne_u16_e32 vcc, s66, v54
	v_bfrev_b32_e32 v10, 1
	s_and_saveexec_b64 s[48:49], vcc
	s_cbranch_execz .LBB2_613
; %bb.608:                              ;   in Loop: Header=BB2_282 Depth=3
	v_and_b32_e32 v10, 0x7c, v54
	v_and_b32_e32 v26, 3, v54
	v_cmp_ne_u32_e32 vcc, s64, v10
                                        ; implicit-def: $vgpr10
	s_and_saveexec_b64 s[50:51], vcc
	s_xor_b64 s[50:51], exec, s[50:51]
	s_cbranch_execz .LBB2_610
; %bb.609:                              ;   in Loop: Header=BB2_282 Depth=3
	v_ffbh_u32_e32 v12, v26
	v_bfe_u32 v10, v54, 2, 5
	v_min_u32_e32 v12, 32, v12
	v_subrev_u32_e32 v13, 29, v12
	v_sub_u32_e32 v12, 30, v12
	v_cmp_eq_u32_e32 vcc, 0, v10
	v_lshlrev_b64 v[36:37], v13, v[54:55]
	v_cndmask_b32_e32 v10, v10, v12, vcc
	v_and_b32_e32 v13, 3, v36
	v_lshlrev_b32_e32 v2, 16, v2
	v_lshl_add_u32 v10, v10, 23, v7
	v_cndmask_b32_e32 v12, v26, v13, vcc
	v_and_or_b32 v2, v2, s65, v10
	v_lshl_or_b32 v10, v12, 21, v2
                                        ; implicit-def: $vgpr26
                                        ; implicit-def: $vgpr2
.LBB2_610:                              ;   in Loop: Header=BB2_282 Depth=3
	s_andn2_saveexec_b64 s[50:51], s[50:51]
; %bb.611:                              ;   in Loop: Header=BB2_282 Depth=3
	v_cmp_lt_i16_e32 vcc, -1, v2
	v_cndmask_b32_e32 v2, v24, v25, vcc
	v_cmp_eq_u32_e32 vcc, 0, v26
	v_cndmask_b32_e32 v10, v6, v2, vcc
; %bb.612:                              ;   in Loop: Header=BB2_282 Depth=3
	s_or_b64 exec, exec, s[50:51]
.LBB2_613:                              ;   in Loop: Header=BB2_282 Depth=3
	s_or_b64 exec, exec, s[48:49]
.LBB2_614:                              ;   in Loop: Header=BB2_282 Depth=3
	s_or_b64 exec, exec, s[18:19]
	v_add_f32_e32 v10, v11, v10
	v_and_b32_sdwa v2, v10, s66 dst_sel:DWORD dst_unused:UNUSED_PAD src0_sel:BYTE_3 src1_sel:DWORD
	v_and_b32_e32 v36, 0x7f800000, v10
	v_mov_b32_e32 v37, v55
	v_and_b32_e32 v54, 0x7fffff, v10
	v_or_b32_e32 v26, 0x7b, v2
	v_cmp_ne_u64_e32 vcc, s[38:39], v[36:37]
	s_and_saveexec_b64 s[18:19], vcc
	s_xor_b64 s[48:49], exec, s[18:19]
	s_cbranch_execz .LBB2_624
; %bb.615:                              ;   in Loop: Header=BB2_282 Depth=3
	v_and_b32_e32 v36, 0x7fffffff, v10
	v_mov_b32_e32 v37, v55
	v_cmp_gt_u64_e32 vcc, s[40:41], v[36:37]
	s_and_saveexec_b64 s[50:51], vcc
	s_cbranch_execz .LBB2_623
; %bb.616:                              ;   in Loop: Header=BB2_282 Depth=3
	v_cmp_ne_u32_e32 vcc, 0, v10
	v_mov_b32_e32 v26, 0
	s_and_saveexec_b64 s[52:53], vcc
	s_cbranch_execz .LBB2_622
; %bb.617:                              ;   in Loop: Header=BB2_282 Depth=3
	v_bfe_u32 v10, v10, 23, 8
	v_sub_u32_e32 v12, 0x71, v10
	v_cmp_gt_u32_e32 vcc, s67, v10
	v_cndmask_b32_e32 v12, 0, v12, vcc
	v_cmp_eq_u32_e32 vcc, 0, v10
	v_or_b32_e32 v13, 0x800000, v54
	v_cndmask_b32_e32 v12, v12, v49, vcc
	v_add_u32_e32 v11, 0xffffff81, v10
	v_cndmask_b32_e32 v54, v13, v54, vcc
	v_add_u32_e32 v10, 21, v12
	v_cndmask_b32_e32 v14, v11, v48, vcc
	v_lshlrev_b64 v[10:11], v10, -1
	v_add_u32_e32 v13, 20, v12
	v_lshrrev_b64 v[50:51], v12, v[54:55]
	v_not_b32_e32 v11, v11
	v_not_b32_e32 v10, v10
	v_lshlrev_b64 v[38:39], v13, 1
	v_lshrrev_b32_e32 v13, 23, v50
	v_and_b32_e32 v11, 0, v11
	v_and_b32_e32 v10, v54, v10
	v_add3_u32 v37, v12, v14, v13
	v_bfe_u32 v12, v50, 21, 1
	v_add_u32_e32 v12, -1, v12
	v_cmp_eq_u64_e32 vcc, v[10:11], v[38:39]
	v_cndmask_b32_e32 v10, 0, v12, vcc
	v_add_u32_e32 v10, v10, v50
	v_and_b32_e32 v10, 0x1fffff, v10
	v_add_co_u32_e32 v10, vcc, v10, v50
	v_add_u32_e32 v36, 14, v37
	v_addc_co_u32_e32 v11, vcc, 0, v51, vcc
	v_cmp_ne_u32_e32 vcc, 0, v36
                                        ; implicit-def: $vgpr26
	s_and_saveexec_b64 s[18:19], vcc
	s_xor_b64 s[18:19], exec, s[18:19]
; %bb.618:                              ;   in Loop: Header=BB2_282 Depth=3
	v_add_u32_e32 v12, 15, v37
	v_cmp_lt_u64_e32 vcc, s[42:43], v[10:11]
	v_cndmask_b32_e32 v26, v36, v12, vcc
	v_cndmask_b32_e64 v12, 0, 1, vcc
	v_lshrrev_b64 v[10:11], v12, v[10:11]
; %bb.619:                              ;   in Loop: Header=BB2_282 Depth=3
	s_andn2_saveexec_b64 s[18:19], s[18:19]
; %bb.620:                              ;   in Loop: Header=BB2_282 Depth=3
	v_bfe_u32 v26, v10, 23, 1
; %bb.621:                              ;   in Loop: Header=BB2_282 Depth=3
	s_or_b64 exec, exec, s[18:19]
	v_lshrrev_b64 v[10:11], 21, v[10:11]
	v_cmp_gt_i32_e32 vcc, 32, v26
	v_cndmask_b32_e32 v11, 0, v11, vcc
	v_cndmask_b32_e32 v10, 3, v10, vcc
	v_cmp_eq_u64_e64 s[18:19], 0, v[10:11]
	v_min_i32_e32 v11, 31, v26
	v_cmp_eq_u32_e32 vcc, 0, v26
	v_lshlrev_b32_e32 v11, 2, v11
	v_and_or_b32 v10, v10, 3, v11
	s_and_b64 s[18:19], vcc, s[18:19]
	v_cndmask_b32_e64 v10, v10, 0, s[18:19]
	v_or_b32_e32 v26, v10, v2
.LBB2_622:                              ;   in Loop: Header=BB2_282 Depth=3
	s_or_b64 exec, exec, s[52:53]
.LBB2_623:                              ;   in Loop: Header=BB2_282 Depth=3
	s_or_b64 exec, exec, s[50:51]
                                        ; implicit-def: $vgpr10
.LBB2_624:                              ;   in Loop: Header=BB2_282 Depth=3
	s_andn2_saveexec_b64 s[18:19], s[48:49]
; %bb.625:                              ;   in Loop: Header=BB2_282 Depth=3
	v_or_b32_sdwa v2, v10, s68 dst_sel:DWORD dst_unused:UNUSED_PAD src0_sel:BYTE_3 src1_sel:DWORD
	v_cmp_eq_u64_e32 vcc, 0, v[54:55]
	v_cndmask_b32_e32 v26, v2, v26, vcc
; %bb.626:                              ;   in Loop: Header=BB2_282 Depth=3
	s_or_b64 exec, exec, s[18:19]
	v_lshrrev_b32_e32 v2, 16, v18
	v_cmp_ne_u16_sdwa vcc, v2, v55 src0_sel:BYTE_0 src1_sel:DWORD
	v_mov_b32_e32 v10, 0
	v_mov_b32_e32 v11, 0
	s_and_saveexec_b64 s[18:19], vcc
	s_cbranch_execz .LBB2_634
; %bb.627:                              ;   in Loop: Header=BB2_282 Depth=3
	v_cmp_ne_u16_sdwa vcc, v2, s66 src0_sel:BYTE_0 src1_sel:DWORD
	v_bfrev_b32_e32 v11, 1
	s_and_saveexec_b64 s[48:49], vcc
	s_cbranch_execz .LBB2_633
; %bb.628:                              ;   in Loop: Header=BB2_282 Depth=3
	v_and_b32_e32 v11, 0x7c0000, v18
	v_bfe_u32 v36, v18, 16, 2
	v_cmp_ne_u32_e32 vcc, s69, v11
                                        ; implicit-def: $vgpr11
	s_and_saveexec_b64 s[50:51], vcc
	s_xor_b64 s[50:51], exec, s[50:51]
	s_cbranch_execz .LBB2_630
; %bb.629:                              ;   in Loop: Header=BB2_282 Depth=3
	v_ffbh_u32_e32 v12, v36
	v_min_u32_e32 v12, 32, v12
	v_bfe_u32 v11, v18, 18, 5
	v_subrev_u32_e32 v13, 29, v12
	v_lshlrev_b64 v[38:39], v13, v[2:3]
	v_sub_u32_e32 v2, 30, v12
	v_cmp_eq_u32_e32 vcc, 0, v11
	v_and_b32_e32 v12, 3, v38
	v_cndmask_b32_e32 v2, v11, v2, vcc
	v_cndmask_b32_e32 v11, v36, v12, vcc
	v_lshlrev_b32_e32 v12, 8, v18
	v_lshl_add_u32 v2, v2, 23, v7
	v_and_or_b32 v2, v12, s65, v2
	v_lshl_or_b32 v11, v11, 21, v2
                                        ; implicit-def: $vgpr36
                                        ; implicit-def: $vgpr2
.LBB2_630:                              ;   in Loop: Header=BB2_282 Depth=3
	s_andn2_saveexec_b64 s[50:51], s[50:51]
; %bb.631:                              ;   in Loop: Header=BB2_282 Depth=3
	v_cmp_gt_i16_sdwa vcc, sext(v2), v47 src0_sel:BYTE_0 src1_sel:DWORD
	v_cndmask_b32_e32 v2, v24, v25, vcc
	v_cmp_eq_u32_e32 vcc, 0, v36
	v_cndmask_b32_e32 v11, v6, v2, vcc
; %bb.632:                              ;   in Loop: Header=BB2_282 Depth=3
	s_or_b64 exec, exec, s[50:51]
.LBB2_633:                              ;   in Loop: Header=BB2_282 Depth=3
	s_or_b64 exec, exec, s[48:49]
.LBB2_634:                              ;   in Loop: Header=BB2_282 Depth=3
	s_or_b64 exec, exec, s[18:19]
	v_lshrrev_b32_e32 v2, 16, v27
	v_cmp_ne_u16_sdwa vcc, v2, v55 src0_sel:BYTE_0 src1_sel:DWORD
	s_and_saveexec_b64 s[18:19], vcc
	s_cbranch_execz .LBB2_642
; %bb.635:                              ;   in Loop: Header=BB2_282 Depth=3
	v_cmp_ne_u16_sdwa vcc, v2, s66 src0_sel:BYTE_0 src1_sel:DWORD
	v_bfrev_b32_e32 v10, 1
	s_and_saveexec_b64 s[48:49], vcc
	s_cbranch_execz .LBB2_641
; %bb.636:                              ;   in Loop: Header=BB2_282 Depth=3
	v_and_b32_e32 v10, 0x7c, v1
	v_bfe_u32 v36, v27, 16, 2
	v_cmp_ne_u32_e32 vcc, s64, v10
                                        ; implicit-def: $vgpr10
	s_and_saveexec_b64 s[50:51], vcc
	s_xor_b64 s[50:51], exec, s[50:51]
	s_cbranch_execz .LBB2_638
; %bb.637:                              ;   in Loop: Header=BB2_282 Depth=3
	v_ffbh_u32_e32 v12, v36
	v_min_u32_e32 v12, 32, v12
	v_bfe_u32 v10, v1, 2, 5
	v_subrev_u32_e32 v13, 29, v12
	v_lshlrev_b64 v[38:39], v13, v[2:3]
	v_sub_u32_e32 v2, 30, v12
	v_cmp_eq_u32_e32 vcc, 0, v10
	v_cndmask_b32_e32 v2, v10, v2, vcc
	v_and_b32_e32 v12, 3, v38
	v_lshlrev_b32_e32 v1, 24, v1
	v_lshl_add_u32 v2, v2, 23, v7
	v_cndmask_b32_e32 v10, v36, v12, vcc
	v_and_or_b32 v1, v1, s65, v2
	v_lshl_or_b32 v10, v10, 21, v1
                                        ; implicit-def: $vgpr36
                                        ; implicit-def: $vgpr2
.LBB2_638:                              ;   in Loop: Header=BB2_282 Depth=3
	s_andn2_saveexec_b64 s[50:51], s[50:51]
; %bb.639:                              ;   in Loop: Header=BB2_282 Depth=3
	v_cmp_gt_i16_sdwa vcc, sext(v2), v47 src0_sel:BYTE_0 src1_sel:DWORD
	v_cndmask_b32_e32 v1, v24, v25, vcc
	v_cmp_eq_u32_e32 vcc, 0, v36
	v_cndmask_b32_e32 v10, v6, v1, vcc
; %bb.640:                              ;   in Loop: Header=BB2_282 Depth=3
	s_or_b64 exec, exec, s[50:51]
.LBB2_641:                              ;   in Loop: Header=BB2_282 Depth=3
	s_or_b64 exec, exec, s[48:49]
.LBB2_642:                              ;   in Loop: Header=BB2_282 Depth=3
	s_or_b64 exec, exec, s[18:19]
	v_add_f32_e32 v10, v11, v10
	v_and_b32_sdwa v2, v10, s66 dst_sel:DWORD dst_unused:UNUSED_PAD src0_sel:BYTE_3 src1_sel:DWORD
	v_and_b32_e32 v36, 0x7f800000, v10
	v_mov_b32_e32 v37, v55
	v_and_b32_e32 v54, 0x7fffff, v10
	v_or_b32_e32 v1, 0x7b, v2
	v_cmp_ne_u64_e32 vcc, s[38:39], v[36:37]
	s_and_saveexec_b64 s[18:19], vcc
	s_xor_b64 s[48:49], exec, s[18:19]
	s_cbranch_execz .LBB2_652
; %bb.643:                              ;   in Loop: Header=BB2_282 Depth=3
	v_and_b32_e32 v36, 0x7fffffff, v10
	v_mov_b32_e32 v37, v55
	v_cmp_gt_u64_e32 vcc, s[40:41], v[36:37]
	s_and_saveexec_b64 s[50:51], vcc
	s_cbranch_execz .LBB2_651
; %bb.644:                              ;   in Loop: Header=BB2_282 Depth=3
	v_cmp_ne_u32_e32 vcc, 0, v10
	v_mov_b32_e32 v1, 0
	s_and_saveexec_b64 s[52:53], vcc
	s_cbranch_execz .LBB2_650
; %bb.645:                              ;   in Loop: Header=BB2_282 Depth=3
	v_bfe_u32 v1, v10, 23, 8
	v_sub_u32_e32 v11, 0x71, v1
	v_cmp_gt_u32_e32 vcc, s67, v1
	v_cndmask_b32_e32 v11, 0, v11, vcc
	v_cmp_eq_u32_e32 vcc, 0, v1
	v_add_u32_e32 v10, 0xffffff81, v1
	v_or_b32_e32 v12, 0x800000, v54
	v_cndmask_b32_e32 v13, v11, v49, vcc
	v_cndmask_b32_e32 v1, v10, v48, vcc
	;; [unrolled: 1-line block ×3, first 2 shown]
	v_add_u32_e32 v10, 21, v13
	v_lshlrev_b64 v[10:11], v10, -1
	v_add_u32_e32 v12, 20, v13
	v_lshrrev_b64 v[50:51], v13, v[54:55]
	v_not_b32_e32 v11, v11
	v_not_b32_e32 v10, v10
	v_lshlrev_b64 v[38:39], v12, 1
	v_lshrrev_b32_e32 v12, 23, v50
	v_and_b32_e32 v11, 0, v11
	v_and_b32_e32 v10, v54, v10
	v_add3_u32 v37, v13, v1, v12
	v_bfe_u32 v1, v50, 21, 1
	v_add_u32_e32 v1, -1, v1
	v_cmp_eq_u64_e32 vcc, v[10:11], v[38:39]
	v_cndmask_b32_e32 v1, 0, v1, vcc
	v_add_u32_e32 v1, v1, v50
	v_and_b32_e32 v1, 0x1fffff, v1
	v_add_co_u32_e32 v10, vcc, v1, v50
	v_add_u32_e32 v36, 14, v37
	v_addc_co_u32_e32 v11, vcc, 0, v51, vcc
	v_cmp_ne_u32_e32 vcc, 0, v36
                                        ; implicit-def: $vgpr1
	s_and_saveexec_b64 s[18:19], vcc
	s_xor_b64 s[18:19], exec, s[18:19]
; %bb.646:                              ;   in Loop: Header=BB2_282 Depth=3
	v_cmp_lt_u64_e32 vcc, s[42:43], v[10:11]
	v_add_u32_e32 v1, 15, v37
	v_cndmask_b32_e64 v12, 0, 1, vcc
	v_cndmask_b32_e32 v1, v36, v1, vcc
	v_lshrrev_b64 v[10:11], v12, v[10:11]
; %bb.647:                              ;   in Loop: Header=BB2_282 Depth=3
	s_andn2_saveexec_b64 s[18:19], s[18:19]
; %bb.648:                              ;   in Loop: Header=BB2_282 Depth=3
	v_bfe_u32 v1, v10, 23, 1
; %bb.649:                              ;   in Loop: Header=BB2_282 Depth=3
	s_or_b64 exec, exec, s[18:19]
	v_lshrrev_b64 v[10:11], 21, v[10:11]
	v_cmp_gt_i32_e32 vcc, 32, v1
	v_cndmask_b32_e32 v11, 0, v11, vcc
	v_cndmask_b32_e32 v10, 3, v10, vcc
	v_cmp_eq_u32_e32 vcc, 0, v1
	v_min_i32_e32 v1, 31, v1
	v_lshlrev_b32_e32 v1, 2, v1
	v_cmp_eq_u64_e64 s[18:19], 0, v[10:11]
	v_and_b32_e32 v1, 0xfc, v1
	v_and_or_b32 v1, v10, 3, v1
	s_and_b64 s[18:19], vcc, s[18:19]
	v_cndmask_b32_e64 v1, v1, 0, s[18:19]
	v_or_b32_e32 v1, v1, v2
.LBB2_650:                              ;   in Loop: Header=BB2_282 Depth=3
	s_or_b64 exec, exec, s[52:53]
.LBB2_651:                              ;   in Loop: Header=BB2_282 Depth=3
	s_or_b64 exec, exec, s[50:51]
                                        ; implicit-def: $vgpr10
.LBB2_652:                              ;   in Loop: Header=BB2_282 Depth=3
	s_andn2_saveexec_b64 s[18:19], s[48:49]
; %bb.653:                              ;   in Loop: Header=BB2_282 Depth=3
	v_or_b32_sdwa v2, v10, s68 dst_sel:DWORD dst_unused:UNUSED_PAD src0_sel:BYTE_3 src1_sel:DWORD
	v_cmp_eq_u64_e32 vcc, 0, v[54:55]
	v_cndmask_b32_e32 v1, v2, v1, vcc
; %bb.654:                              ;   in Loop: Header=BB2_282 Depth=3
	s_or_b64 exec, exec, s[18:19]
	v_mov_b32_e32 v10, v55
	v_mov_b32_e32 v11, v18
	v_cmp_lt_u64_e32 vcc, s[36:37], v[10:11]
	v_mov_b32_e32 v36, 0
	v_mov_b32_e32 v37, 0
	s_and_saveexec_b64 s[18:19], vcc
	s_cbranch_execz .LBB2_662
; %bb.655:                              ;   in Loop: Header=BB2_282 Depth=3
	v_lshrrev_b32_e32 v2, 24, v18
	v_cmp_ne_u32_e32 vcc, s66, v2
	v_bfrev_b32_e32 v37, 1
	s_and_saveexec_b64 s[48:49], vcc
	s_cbranch_execz .LBB2_661
; %bb.656:                              ;   in Loop: Header=BB2_282 Depth=3
	v_and_b32_e32 v12, 0x7c000000, v18
	v_bfe_u32 v54, v18, 24, 2
	v_cmp_ne_u32_e32 vcc, s70, v12
                                        ; implicit-def: $vgpr37
	s_and_saveexec_b64 s[50:51], vcc
	s_xor_b64 s[50:51], exec, s[50:51]
	s_cbranch_execz .LBB2_658
; %bb.657:                              ;   in Loop: Header=BB2_282 Depth=3
	v_ffbh_u32_e32 v10, v54
	v_min_u32_e32 v13, 32, v10
	v_bfe_u32 v12, v18, 26, 5
	v_subrev_u32_e32 v10, 29, v13
	v_lshlrev_b64 v[10:11], v10, v[2:3]
	v_sub_u32_e32 v2, 30, v13
	v_cmp_eq_u32_e32 vcc, 0, v12
	v_cndmask_b32_e32 v2, v12, v2, vcc
	v_and_b32_e32 v10, 3, v10
	v_lshl_add_u32 v2, v2, 23, v7
	v_cndmask_b32_e32 v10, v54, v10, vcc
	v_and_or_b32 v2, v18, s65, v2
	v_lshl_or_b32 v37, v10, 21, v2
                                        ; implicit-def: $vgpr54
                                        ; implicit-def: $vgpr10_vgpr11
.LBB2_658:                              ;   in Loop: Header=BB2_282 Depth=3
	s_andn2_saveexec_b64 s[50:51], s[50:51]
; %bb.659:                              ;   in Loop: Header=BB2_282 Depth=3
	v_cmp_lt_i64_e32 vcc, -1, v[10:11]
	v_cndmask_b32_e32 v2, v24, v25, vcc
	v_cmp_eq_u32_e32 vcc, 0, v54
	v_cndmask_b32_e32 v37, v6, v2, vcc
; %bb.660:                              ;   in Loop: Header=BB2_282 Depth=3
	s_or_b64 exec, exec, s[50:51]
.LBB2_661:                              ;   in Loop: Header=BB2_282 Depth=3
	s_or_b64 exec, exec, s[48:49]
.LBB2_662:                              ;   in Loop: Header=BB2_282 Depth=3
	s_or_b64 exec, exec, s[18:19]
	v_cmp_lt_u32_e32 vcc, s37, v27
	s_and_saveexec_b64 s[18:19], vcc
	s_cbranch_execz .LBB2_670
; %bb.663:                              ;   in Loop: Header=BB2_282 Depth=3
	v_lshrrev_b32_e32 v2, 24, v27
	v_cmp_ne_u32_e32 vcc, s66, v2
	v_bfrev_b32_e32 v36, 1
	s_and_saveexec_b64 s[48:49], vcc
	s_cbranch_execz .LBB2_669
; %bb.664:                              ;   in Loop: Header=BB2_282 Depth=3
	v_and_b32_e32 v11, 0x7c000000, v27
	v_bfe_u32 v10, v27, 24, 2
	v_cmp_ne_u32_e32 vcc, s70, v11
                                        ; implicit-def: $vgpr36
	s_and_saveexec_b64 s[50:51], vcc
	s_xor_b64 s[50:51], exec, s[50:51]
	s_cbranch_execz .LBB2_666
; %bb.665:                              ;   in Loop: Header=BB2_282 Depth=3
	v_ffbh_u32_e32 v12, v10
	v_min_u32_e32 v12, 32, v12
	v_bfe_u32 v11, v27, 26, 5
	v_subrev_u32_e32 v13, 29, v12
	v_lshlrev_b64 v[38:39], v13, v[2:3]
	v_sub_u32_e32 v2, 30, v12
	v_cmp_eq_u32_e32 vcc, 0, v11
	v_cndmask_b32_e32 v2, v11, v2, vcc
	v_and_b32_e32 v12, 3, v38
	v_lshl_add_u32 v2, v2, 23, v7
	v_cndmask_b32_e32 v10, v10, v12, vcc
	v_and_or_b32 v2, v22, s65, v2
	v_lshl_or_b32 v36, v10, 21, v2
                                        ; implicit-def: $vgpr10
                                        ; implicit-def: $vgpr22
.LBB2_666:                              ;   in Loop: Header=BB2_282 Depth=3
	s_andn2_saveexec_b64 s[50:51], s[50:51]
; %bb.667:                              ;   in Loop: Header=BB2_282 Depth=3
	v_cmp_lt_i32_e32 vcc, -1, v22
	v_cndmask_b32_e32 v2, v24, v25, vcc
	v_cmp_eq_u32_e32 vcc, 0, v10
	v_cndmask_b32_e32 v36, v6, v2, vcc
; %bb.668:                              ;   in Loop: Header=BB2_282 Depth=3
	s_or_b64 exec, exec, s[50:51]
.LBB2_669:                              ;   in Loop: Header=BB2_282 Depth=3
	s_or_b64 exec, exec, s[48:49]
.LBB2_670:                              ;   in Loop: Header=BB2_282 Depth=3
	s_or_b64 exec, exec, s[18:19]
	v_add_f32_e32 v11, v37, v36
	v_and_b32_sdwa v2, v11, s66 dst_sel:DWORD dst_unused:UNUSED_PAD src0_sel:BYTE_3 src1_sel:DWORD
	v_and_b32_e32 v36, 0x7f800000, v11
	v_mov_b32_e32 v37, v55
	v_and_b32_e32 v54, 0x7fffff, v11
	v_or_b32_e32 v10, 0x7b, v2
	v_cmp_ne_u64_e32 vcc, s[38:39], v[36:37]
	s_and_saveexec_b64 s[18:19], vcc
	s_xor_b64 s[48:49], exec, s[18:19]
	s_cbranch_execz .LBB2_680
; %bb.671:                              ;   in Loop: Header=BB2_282 Depth=3
	v_and_b32_e32 v36, 0x7fffffff, v11
	v_mov_b32_e32 v37, v55
	v_cmp_gt_u64_e32 vcc, s[40:41], v[36:37]
	s_and_saveexec_b64 s[50:51], vcc
	s_cbranch_execz .LBB2_679
; %bb.672:                              ;   in Loop: Header=BB2_282 Depth=3
	v_cmp_ne_u32_e32 vcc, 0, v11
	v_mov_b32_e32 v10, 0
	s_and_saveexec_b64 s[52:53], vcc
	s_cbranch_execz .LBB2_678
; %bb.673:                              ;   in Loop: Header=BB2_282 Depth=3
	v_bfe_u32 v10, v11, 23, 8
	v_sub_u32_e32 v12, 0x71, v10
	v_cmp_gt_u32_e32 vcc, s67, v10
	v_cndmask_b32_e32 v12, 0, v12, vcc
	v_cmp_eq_u32_e32 vcc, 0, v10
	v_or_b32_e32 v13, 0x800000, v54
	v_cndmask_b32_e32 v12, v12, v49, vcc
	v_add_u32_e32 v11, 0xffffff81, v10
	v_cndmask_b32_e32 v54, v13, v54, vcc
	v_add_u32_e32 v10, 21, v12
	v_cndmask_b32_e32 v14, v11, v48, vcc
	v_lshlrev_b64 v[10:11], v10, -1
	v_add_u32_e32 v13, 20, v12
	v_lshrrev_b64 v[38:39], v12, v[54:55]
	v_not_b32_e32 v11, v11
	v_not_b32_e32 v10, v10
	v_lshlrev_b64 v[36:37], v13, 1
	v_lshrrev_b32_e32 v13, 23, v38
	v_and_b32_e32 v11, 0, v11
	v_and_b32_e32 v10, v54, v10
	v_add3_u32 v27, v12, v14, v13
	v_bfe_u32 v12, v38, 21, 1
	v_add_u32_e32 v12, -1, v12
	v_cmp_eq_u64_e32 vcc, v[10:11], v[36:37]
	v_cndmask_b32_e32 v10, 0, v12, vcc
	v_add_u32_e32 v10, v10, v38
	v_and_b32_e32 v10, 0x1fffff, v10
	v_add_co_u32_e32 v10, vcc, v10, v38
	v_add_u32_e32 v22, 14, v27
	v_addc_co_u32_e32 v11, vcc, 0, v39, vcc
	v_cmp_ne_u32_e32 vcc, 0, v22
                                        ; implicit-def: $vgpr18
	s_and_saveexec_b64 s[18:19], vcc
	s_xor_b64 s[18:19], exec, s[18:19]
; %bb.674:                              ;   in Loop: Header=BB2_282 Depth=3
	v_add_u32_e32 v12, 15, v27
	v_cmp_lt_u64_e32 vcc, s[42:43], v[10:11]
	v_cndmask_b32_e32 v18, v22, v12, vcc
	v_cndmask_b32_e64 v12, 0, 1, vcc
	v_lshrrev_b64 v[10:11], v12, v[10:11]
; %bb.675:                              ;   in Loop: Header=BB2_282 Depth=3
	s_andn2_saveexec_b64 s[18:19], s[18:19]
; %bb.676:                              ;   in Loop: Header=BB2_282 Depth=3
	v_bfe_u32 v18, v10, 23, 1
; %bb.677:                              ;   in Loop: Header=BB2_282 Depth=3
	s_or_b64 exec, exec, s[18:19]
	v_lshrrev_b64 v[10:11], 21, v[10:11]
	v_cmp_gt_i32_e32 vcc, 32, v18
	v_cndmask_b32_e32 v11, 0, v11, vcc
	v_cndmask_b32_e32 v10, 3, v10, vcc
	v_cmp_eq_u64_e64 s[18:19], 0, v[10:11]
	v_min_i32_e32 v11, 31, v18
	v_lshlrev_b32_e32 v11, 2, v11
	v_cmp_eq_u32_e32 vcc, 0, v18
	v_and_b32_e32 v11, 0xfc, v11
	v_and_or_b32 v10, v10, 3, v11
	s_and_b64 s[18:19], vcc, s[18:19]
	v_cndmask_b32_e64 v10, v10, 0, s[18:19]
	v_or_b32_e32 v10, v10, v2
.LBB2_678:                              ;   in Loop: Header=BB2_282 Depth=3
	s_or_b64 exec, exec, s[52:53]
.LBB2_679:                              ;   in Loop: Header=BB2_282 Depth=3
	s_or_b64 exec, exec, s[50:51]
                                        ; implicit-def: $vgpr11
.LBB2_680:                              ;   in Loop: Header=BB2_282 Depth=3
	s_andn2_saveexec_b64 s[18:19], s[48:49]
	s_cbranch_execz .LBB2_281
; %bb.681:                              ;   in Loop: Header=BB2_282 Depth=3
	v_or_b32_sdwa v2, v11, s68 dst_sel:DWORD dst_unused:UNUSED_PAD src0_sel:BYTE_3 src1_sel:DWORD
	v_cmp_eq_u64_e32 vcc, 0, v[54:55]
	v_cndmask_b32_e32 v10, v2, v10, vcc
	s_branch .LBB2_281
.LBB2_682:                              ;   in Loop: Header=BB2_238 Depth=2
	s_or_b64 exec, exec, s[46:47]
	v_accvgpr_read_b32 v51, a11
	v_accvgpr_read_b32 v44, a48
	v_accvgpr_read_b32 v50, a10
	v_accvgpr_read_b32 v45, a49
	s_or_b64 exec, exec, s[44:45]
	s_and_saveexec_b64 s[18:19], s[10:11]
	s_cbranch_execz .LBB2_242
.LBB2_683:                              ;   in Loop: Header=BB2_238 Depth=2
	s_and_saveexec_b64 vcc, s[28:29]
	s_xor_b64 s[44:45], exec, vcc
	s_cbranch_execz .LBB2_698
; %bb.684:                              ;   in Loop: Header=BB2_238 Depth=2
	s_and_saveexec_b64 s[46:47], s[12:13]
	s_cbranch_execz .LBB2_697
; %bb.685:                              ;   in Loop: Header=BB2_238 Depth=2
	s_mov_b64 s[50:51], exec
	v_mbcnt_lo_u32_b32 v1, s50, 0
	v_mbcnt_hi_u32_b32 v1, s51, v1
	v_cmp_eq_u32_e32 vcc, 0, v1
	s_waitcnt vmcnt(0) lgkmcnt(0)
	buffer_wbinvl1_vol
	s_and_saveexec_b64 s[48:49], vcc
	s_cbranch_execz .LBB2_687
; %bb.686:                              ;   in Loop: Header=BB2_238 Depth=2
	s_bcnt1_i32_b64 vcc_lo, s[50:51]
	v_mov_b32_e32 v54, vcc_lo
	ds_add_u64 v0, v[54:55]
	s_trap 2
.LBB2_687:                              ;   in Loop: Header=BB2_238 Depth=2
	s_or_b64 exec, exec, s[48:49]
	s_trap 2
	ds_read_b64 v[2:3], v0
	v_accvgpr_read_b32 v4, a36
	v_add_co_u32_e32 v42, vcc, v42, v4
	v_accvgpr_read_b32 v1, a47
	v_addc_co_u32_e32 v43, vcc, v43, v1, vcc
	s_waitcnt lgkmcnt(0)
	v_cmp_lt_u64_e32 vcc, v[2:3], v[42:43]
	s_and_saveexec_b64 s[48:49], vcc
	s_cbranch_execz .LBB2_696
; %bb.688:                              ;   in Loop: Header=BB2_238 Depth=2
	s_mov_b32 s77, 0
	s_mov_b64 s[50:51], 0
                                        ; implicit-def: $sgpr52_sgpr53
                                        ; implicit-def: $sgpr54_sgpr55
	s_branch .LBB2_690
.LBB2_689:                              ;   in Loop: Header=BB2_690 Depth=3
	s_or_b64 exec, exec, s[58:59]
	s_and_b64 vcc, exec, vcc
	s_or_b64 s[50:51], vcc, s[50:51]
	s_andn2_b64 vcc, s[52:53], exec
	s_and_b64 s[52:53], s[54:55], exec
	s_or_b64 s[52:53], vcc, s[52:53]
	s_andn2_b64 exec, exec, s[50:51]
	s_cbranch_execz .LBB2_694
.LBB2_690:                              ;   Parent Loop BB2_29 Depth=1
                                        ;     Parent Loop BB2_238 Depth=2
                                        ; =>    This Inner Loop Header: Depth=3
	s_add_i32 s77, s77, 1
	s_cmpk_lg_i32 s77, 0x2710
	s_cselect_b64 s[56:57], -1, 0
	s_and_b64 vcc, exec, s[56:57]
                                        ; implicit-def: $sgpr58_sgpr59
	s_cbranch_vccnz .LBB2_692
; %bb.691:                              ;   in Loop: Header=BB2_690 Depth=3
	s_trap 2
	ds_read_b64 v[2:3], v0
	s_andn2_b64 s[56:57], s[56:57], exec
	s_mov_b32 s77, 0
	s_mov_b64 s[58:59], -1
	s_waitcnt lgkmcnt(0)
	flat_load_dword v1, v[2:3] glc
	s_waitcnt vmcnt(0) lgkmcnt(0)
	buffer_invl2
	buffer_wbinvl1_vol
	v_cmp_eq_u32_e32 vcc, 0, v1
	s_and_b64 vcc, vcc, exec
	s_or_b64 s[56:57], s[56:57], vcc
.LBB2_692:                              ;   in Loop: Header=BB2_690 Depth=3
	s_andn2_b64 s[54:55], s[54:55], exec
	s_and_b64 s[58:59], s[58:59], exec
	s_mov_b64 vcc, -1
	s_or_b64 s[54:55], s[54:55], s[58:59]
	s_and_saveexec_b64 s[58:59], s[56:57]
	s_cbranch_execz .LBB2_689
; %bb.693:                              ;   in Loop: Header=BB2_690 Depth=3
	s_sleep 1
	s_trap 2
	ds_read_b64 v[2:3], v0
	s_andn2_b64 s[54:55], s[54:55], exec
	s_waitcnt lgkmcnt(0)
	v_cmp_ge_u64_e32 vcc, v[2:3], v[42:43]
	s_orn2_b64 vcc, vcc, exec
	s_branch .LBB2_689
.LBB2_694:                              ;   in Loop: Header=BB2_238 Depth=2
	s_or_b64 exec, exec, s[50:51]
	s_and_saveexec_b64 vcc, s[52:53]
	s_xor_b64 vcc, exec, vcc
	s_cbranch_execz .LBB2_696
; %bb.695:                              ;   in Loop: Header=BB2_238 Depth=2
	v_mov_b32_e32 v1, 1
	ds_write_b32 v0, v1
	s_trap 2
.LBB2_696:                              ;   in Loop: Header=BB2_238 Depth=2
	s_or_b64 exec, exec, s[48:49]
	;;#ASMSTART
	s_wakeup
	;;#ASMEND
.LBB2_697:                              ;   in Loop: Header=BB2_238 Depth=2
	s_or_b64 exec, exec, s[46:47]
.LBB2_698:                              ;   in Loop: Header=BB2_238 Depth=2
	s_andn2_saveexec_b64 vcc, s[44:45]
	s_cbranch_execz .LBB2_700
; %bb.699:                              ;   in Loop: Header=BB2_238 Depth=2
	s_waitcnt vmcnt(0) lgkmcnt(0)
	buffer_wbinvl1_vol
	s_barrier
.LBB2_700:                              ;   in Loop: Header=BB2_238 Depth=2
	s_or_b64 exec, exec, vcc
	s_or_b64 exec, exec, s[18:19]
	s_and_saveexec_b64 s[18:19], s[14:15]
	s_cbranch_execnz .LBB2_243
	s_branch .LBB2_244
.LBB2_701:                              ;   in Loop: Header=BB2_29 Depth=1
	v_accvgpr_write_b32 a52, v1
	v_accvgpr_write_b32 a51, v2
	v_pk_mov_b32 v[16:17], v[28:29], v[28:29] op_sel:[0,1]
	s_branch .LBB2_703
.LBB2_702:                              ;   in Loop: Header=BB2_29 Depth=1
	v_accvgpr_read_b32 v8, a30
	v_pk_mov_b32 v[16:17], v[28:29], v[28:29] op_sel:[0,1]
	v_accvgpr_read_b32 v9, a31
.LBB2_703:                              ;   in Loop: Header=BB2_29 Depth=1
	v_accvgpr_read_b32 v4, a51
	v_accvgpr_read_b32 v5, a52
; %bb.704:                              ;   in Loop: Header=BB2_29 Depth=1
	s_and_saveexec_b64 s[18:19], s[16:17]
	s_cbranch_execz .LBB2_1126
; %bb.705:                              ;   in Loop: Header=BB2_29 Depth=1
	v_accvgpr_read_b32 v0, a6
	v_accvgpr_read_b32 v1, a7
	flat_load_dword v10, v[0:1]
	s_waitcnt vmcnt(0) lgkmcnt(0)
	v_accvgpr_read_b32 v2, a12
	v_accvgpr_read_b32 v3, a13
	v_add_co_u32_e32 v2, vcc, v2, v4
	v_addc_co_u32_e32 v3, vcc, v3, v5, vcc
	v_accvgpr_read_b32 v0, a40
	v_add_co_u32_e32 v0, vcc, v0, v4
	v_and_b32_e32 v4, 7, v34
	v_accvgpr_read_b32 v1, a41
	v_mul_lo_u32 v4, v4, s60
	v_addc_co_u32_e32 v1, vcc, v1, v5, vcc
	v_ashrrev_i32_e32 v5, 31, v4
	v_lshlrev_b64 v[4:5], 4, v[4:5]
	v_accvgpr_read_b32 v12, a18
	v_accvgpr_read_b32 v13, a19
	v_add_co_u32_e32 v9, vcc, v12, v4
	v_addc_co_u32_e32 v44, vcc, v13, v5, vcc
	v_accvgpr_read_b32 v5, a32
	v_accvgpr_read_b32 v11, a3
	v_add_u32_e32 v8, 1, v34
	s_mov_b64 s[44:45], 0
	v_accvgpr_read_b32 v26, a2
	v_ashrrev_i32_e32 v4, 31, v10
	v_mul_lo_u32 v5, v5, v10
	v_mad_u64_u32 v[2:3], s[16:17], v11, v10, v[2:3]
	v_mul_lo_u32 v4, v11, v4
	v_add3_u32 v3, v5, v3, v4
	v_accvgpr_read_b32 v4, a38
	v_add_co_u32_e32 v18, vcc, v2, v4
	v_accvgpr_read_b32 v5, a33
	v_addc_co_u32_e32 v19, vcc, v3, v5, vcc
	s_branch .LBB2_707
.LBB2_706:                              ;   in Loop: Header=BB2_707 Depth=2
	v_add_co_u32_e32 v18, vcc, v18, v56
	v_addc_co_u32_e32 v19, vcc, v19, v57, vcc
	v_add_co_u32_e32 v0, vcc, v0, v56
	v_addc_co_u32_e32 v1, vcc, v1, v57, vcc
	v_sub_u32_e32 v46, v46, v56
	v_cmp_gt_i32_e32 vcc, 1, v46
	s_or_b64 s[44:45], vcc, s[44:45]
	v_add_u32_e32 v26, v26, v20
	s_andn2_b64 exec, exec, s[44:45]
	s_cbranch_execz .LBB2_1125
.LBB2_707:                              ;   Parent Loop BB2_29 Depth=1
                                        ; =>  This Loop Header: Depth=2
                                        ;       Child Loop BB2_715 Depth 3
	v_and_b32_e32 v2, -4, v18
	v_mov_b32_e32 v3, v19
	global_load_dword v28, v[2:3], off glc slc
	v_min_u32_e32 v4, 8, v46
	v_and_b32_e32 v5, 3, v18
	v_add_co_u32_e32 v4, vcc, v5, v4
	v_addc_co_u32_e64 v5, s[16:17], 0, 0, vcc
	v_mov_b32_e32 v21, 0
	v_cmp_lt_u64_e32 vcc, 4, v[4:5]
	v_mov_b32_e32 v22, 0
	s_and_saveexec_b64 s[16:17], vcc
	s_cbranch_execz .LBB2_709
; %bb.708:                              ;   in Loop: Header=BB2_707 Depth=2
	global_load_dword v22, v[2:3], off offset:4 glc slc
.LBB2_709:                              ;   in Loop: Header=BB2_707 Depth=2
	s_or_b64 exec, exec, s[16:17]
	v_cmp_lt_u64_e32 vcc, 8, v[4:5]
	s_and_saveexec_b64 s[16:17], vcc
	s_cbranch_execz .LBB2_711
; %bb.710:                              ;   in Loop: Header=BB2_707 Depth=2
	global_load_dword v21, v[2:3], off offset:8 glc slc
.LBB2_711:                              ;   in Loop: Header=BB2_707 Depth=2
	s_or_b64 exec, exec, s[16:17]
	v_ashrrev_i32_e32 v27, 31, v26
	v_lshlrev_b64 v[2:3], 4, v[26:27]
	v_add_co_u32_e32 v10, vcc, v9, v2
	v_addc_co_u32_e32 v11, vcc, v44, v3, vcc
	global_load_dwordx4 v[2:5], v[10:11], off glc slc
	v_cmp_eq_u32_e32 vcc, 0, v30
	s_and_saveexec_b64 s[46:47], vcc
	s_cbranch_execz .LBB2_723
; %bb.712:                              ;   in Loop: Header=BB2_707 Depth=2
	s_waitcnt vmcnt(0)
	v_cmp_ne_u32_e32 vcc, v8, v3
	v_cmp_ne_u32_e64 s[16:17], v8, v5
	s_or_b64 s[16:17], vcc, s[16:17]
	v_mov_b32_e32 v30, 0
	s_and_saveexec_b64 s[48:49], s[16:17]
	s_cbranch_execz .LBB2_722
; %bb.713:                              ;   in Loop: Header=BB2_707 Depth=2
	s_mov_b32 s54, 1
	s_mov_b64 s[50:51], 0
	v_mov_b32_e32 v30, 0
	s_branch .LBB2_715
.LBB2_714:                              ;   in Loop: Header=BB2_715 Depth=3
	s_or_b64 exec, exec, s[52:53]
	s_and_b64 s[16:17], exec, s[16:17]
	s_or_b64 s[50:51], s[16:17], s[50:51]
	s_andn2_b64 exec, exec, s[50:51]
	s_cbranch_execz .LBB2_721
.LBB2_715:                              ;   Parent Loop BB2_29 Depth=1
                                        ;     Parent Loop BB2_707 Depth=2
                                        ; =>    This Inner Loop Header: Depth=3
	global_load_dwordx4 v[2:5], v[10:11], off glc slc
	s_add_i32 s54, s54, 1
	s_cmpk_lg_i32 s54, 0x2710
	s_cbranch_scc1 .LBB2_719
; %bb.716:                              ;   in Loop: Header=BB2_715 Depth=3
	s_trap 2
	ds_read_b64 v[32:33], v0
	s_waitcnt vmcnt(0) lgkmcnt(0)
	flat_load_dword v23, v[32:33] glc
	s_waitcnt vmcnt(0) lgkmcnt(0)
	buffer_invl2
	buffer_wbinvl1_vol
	v_cmp_ne_u32_e32 vcc, 0, v23
	s_and_saveexec_b64 s[16:17], vcc
	s_cbranch_execz .LBB2_718
; %bb.717:                              ;   in Loop: Header=BB2_715 Depth=3
	v_mov_b32_e32 v30, 1
	ds_write_b32 v0, v23
	s_trap 2
.LBB2_718:                              ;   in Loop: Header=BB2_715 Depth=3
	s_or_b64 exec, exec, s[16:17]
	s_mov_b32 s54, 0
	v_mov_b32_e32 v23, v30
	v_cmp_eq_u32_e32 vcc, 0, v23
	s_mov_b64 s[16:17], -1
	s_and_saveexec_b64 s[52:53], vcc
	s_cbranch_execz .LBB2_714
	s_branch .LBB2_720
.LBB2_719:                              ;   in Loop: Header=BB2_715 Depth=3
	v_mov_b32_e32 v23, 0
	v_cmp_eq_u32_e32 vcc, 0, v23
	s_mov_b64 s[16:17], -1
	s_and_saveexec_b64 s[52:53], vcc
	s_cbranch_execz .LBB2_714
.LBB2_720:                              ;   in Loop: Header=BB2_715 Depth=3
	s_waitcnt vmcnt(0)
	v_cmp_eq_u32_e32 vcc, v8, v3
	v_cmp_eq_u32_e64 s[16:17], v8, v5
	s_and_b64 s[16:17], vcc, s[16:17]
	s_orn2_b64 s[16:17], s[16:17], exec
	s_branch .LBB2_714
.LBB2_721:                              ;   in Loop: Header=BB2_707 Depth=2
	s_or_b64 exec, exec, s[50:51]
.LBB2_722:                              ;   in Loop: Header=BB2_707 Depth=2
	s_or_b64 exec, exec, s[48:49]
.LBB2_723:                              ;   in Loop: Header=BB2_707 Depth=2
	s_or_b64 exec, exec, s[46:47]
	v_lshlrev_b32_e32 v23, 3, v18
	s_waitcnt vmcnt(0)
	v_alignbit_b32 v54, v22, v28, v23
	v_cmp_ne_u16_sdwa vcc, v54, v55 src0_sel:BYTE_0 src1_sel:DWORD
	v_mov_b32_e32 v10, 0
	s_and_saveexec_b64 s[16:17], vcc
	s_cbranch_execz .LBB2_731
; %bb.724:                              ;   in Loop: Header=BB2_707 Depth=2
	v_cmp_ne_u16_sdwa vcc, sext(v54), s63 src0_sel:BYTE_0 src1_sel:DWORD
	v_bfrev_b32_e32 v10, 1
	s_and_saveexec_b64 s[46:47], vcc
	s_cbranch_execz .LBB2_730
; %bb.725:                              ;   in Loop: Header=BB2_707 Depth=2
	v_and_b32_e32 v10, 0x7c, v54
	v_and_b32_e32 v11, 3, v54
	v_cmp_ne_u32_e32 vcc, s64, v10
                                        ; implicit-def: $vgpr10
	s_and_saveexec_b64 s[48:49], vcc
	s_xor_b64 s[48:49], exec, s[48:49]
	s_cbranch_execz .LBB2_727
; %bb.726:                              ;   in Loop: Header=BB2_707 Depth=2
	v_ffbh_u32_e32 v27, v11
	v_bfe_u32 v10, v54, 2, 5
	v_min_u32_e32 v27, 32, v27
	v_subrev_u32_e32 v28, 29, v27
	v_sub_u32_e32 v27, 30, v27
	v_cmp_eq_u32_e32 vcc, 0, v10
	v_lshlrev_b64 v[28:29], v28, v[54:55]
	v_cndmask_b32_e32 v10, v10, v27, vcc
	v_and_b32_e32 v28, 3, v28
	v_lshlrev_b32_e32 v27, 24, v54
	v_lshl_add_u32 v10, v10, 23, v7
	v_cndmask_b32_e32 v11, v11, v28, vcc
	v_and_or_b32 v10, v27, s65, v10
	v_lshl_or_b32 v10, v11, 21, v10
                                        ; implicit-def: $vgpr11
.LBB2_727:                              ;   in Loop: Header=BB2_707 Depth=2
	s_andn2_saveexec_b64 s[48:49], s[48:49]
; %bb.728:                              ;   in Loop: Header=BB2_707 Depth=2
	v_cmp_gt_i16_sdwa vcc, sext(v54), v47 src0_sel:BYTE_0 src1_sel:DWORD
	v_cndmask_b32_e32 v10, v24, v25, vcc
	v_cmp_eq_u32_e32 vcc, 0, v11
	v_cndmask_b32_e32 v10, v6, v10, vcc
; %bb.729:                              ;   in Loop: Header=BB2_707 Depth=2
	s_or_b64 exec, exec, s[48:49]
.LBB2_730:                              ;   in Loop: Header=BB2_707 Depth=2
	s_or_b64 exec, exec, s[46:47]
.LBB2_731:                              ;   in Loop: Header=BB2_707 Depth=2
	s_or_b64 exec, exec, s[16:17]
	v_mul_f32_e32 v11, v62, v10
	v_and_b32_sdwa v27, v11, s66 dst_sel:DWORD dst_unused:UNUSED_PAD src0_sel:BYTE_3 src1_sel:DWORD
	v_and_b32_e32 v32, 0x7f800000, v11
	v_mov_b32_e32 v33, v55
	v_and_b32_e32 v28, 0x7fffff, v11
	v_mov_b32_e32 v29, v55
	v_or_b32_e32 v10, 0x7b, v27
	v_cmp_ne_u64_e32 vcc, s[38:39], v[32:33]
	s_and_saveexec_b64 s[16:17], vcc
	s_xor_b64 s[46:47], exec, s[16:17]
	s_cbranch_execz .LBB2_741
; %bb.732:                              ;   in Loop: Header=BB2_707 Depth=2
	v_and_b32_e32 v32, 0x7fffffff, v11
	v_mov_b32_e32 v33, v55
	v_cmp_gt_u64_e32 vcc, s[40:41], v[32:33]
	s_and_saveexec_b64 s[48:49], vcc
	s_cbranch_execz .LBB2_740
; %bb.733:                              ;   in Loop: Header=BB2_707 Depth=2
	v_cmp_ne_u32_e32 vcc, 0, v11
	v_mov_b32_e32 v10, 0
	s_and_saveexec_b64 s[50:51], vcc
	s_cbranch_execz .LBB2_739
; %bb.734:                              ;   in Loop: Header=BB2_707 Depth=2
	v_bfe_u32 v10, v11, 23, 8
	v_sub_u32_e32 v31, 0x71, v10
	v_cmp_gt_u32_e32 vcc, s67, v10
	v_cndmask_b32_e32 v31, 0, v31, vcc
	v_cmp_eq_u32_e32 vcc, 0, v10
	v_cndmask_b32_e32 v31, v31, v49, vcc
	v_add_u32_e32 v11, 0xffffff81, v10
	v_or_b32_e32 v32, 0x800000, v28
	v_add_u32_e32 v10, 21, v31
	v_cndmask_b32_e32 v38, v11, v48, vcc
	v_cndmask_b32_e32 v28, v32, v28, vcc
	v_lshlrev_b64 v[10:11], v10, -1
	v_not_b32_e32 v10, v10
	v_lshrrev_b64 v[36:37], v31, v[28:29]
	v_not_b32_e32 v11, v11
	v_and_b32_e32 v10, v28, v10
	v_add_u32_e32 v32, 20, v31
	v_lshrrev_b32_e32 v28, 23, v36
	v_and_b32_e32 v11, 0, v11
	v_lshlrev_b64 v[32:33], v32, 1
	v_add3_u32 v31, v31, v38, v28
	v_bfe_u32 v28, v36, 21, 1
	v_add_u32_e32 v28, -1, v28
	v_cmp_eq_u64_e32 vcc, v[10:11], v[32:33]
	v_cndmask_b32_e32 v10, 0, v28, vcc
	v_add_u32_e32 v10, v10, v36
	v_and_b32_e32 v10, 0x1fffff, v10
	v_add_co_u32_e32 v10, vcc, v10, v36
	v_add_u32_e32 v29, 14, v31
	v_addc_co_u32_e32 v11, vcc, 0, v37, vcc
	v_cmp_ne_u32_e32 vcc, 0, v29
                                        ; implicit-def: $vgpr28
	s_and_saveexec_b64 s[16:17], vcc
	s_xor_b64 s[16:17], exec, s[16:17]
; %bb.735:                              ;   in Loop: Header=BB2_707 Depth=2
	v_add_u32_e32 v28, 15, v31
	v_cmp_lt_u64_e32 vcc, s[42:43], v[10:11]
	v_cndmask_b32_e32 v28, v29, v28, vcc
	v_cndmask_b32_e64 v29, 0, 1, vcc
	v_lshrrev_b64 v[10:11], v29, v[10:11]
; %bb.736:                              ;   in Loop: Header=BB2_707 Depth=2
	s_andn2_saveexec_b64 s[16:17], s[16:17]
; %bb.737:                              ;   in Loop: Header=BB2_707 Depth=2
	v_bfe_u32 v28, v10, 23, 1
; %bb.738:                              ;   in Loop: Header=BB2_707 Depth=2
	s_or_b64 exec, exec, s[16:17]
	v_lshrrev_b64 v[10:11], 21, v[10:11]
	v_cmp_gt_i32_e32 vcc, 32, v28
	v_cndmask_b32_e32 v11, 0, v11, vcc
	v_cndmask_b32_e32 v10, 3, v10, vcc
	v_cmp_eq_u64_e64 s[16:17], 0, v[10:11]
	v_min_i32_e32 v11, 31, v28
	v_cmp_eq_u32_e32 vcc, 0, v28
	v_lshlrev_b32_e32 v11, 2, v11
	v_and_or_b32 v10, v10, 3, v11
	s_and_b64 s[16:17], vcc, s[16:17]
	v_cndmask_b32_e64 v10, v10, 0, s[16:17]
	v_or_b32_e32 v10, v10, v27
.LBB2_739:                              ;   in Loop: Header=BB2_707 Depth=2
	s_or_b64 exec, exec, s[50:51]
.LBB2_740:                              ;   in Loop: Header=BB2_707 Depth=2
	s_or_b64 exec, exec, s[48:49]
                                        ; implicit-def: $vgpr11
                                        ; implicit-def: $vgpr28_vgpr29
.LBB2_741:                              ;   in Loop: Header=BB2_707 Depth=2
	s_andn2_saveexec_b64 s[16:17], s[46:47]
; %bb.742:                              ;   in Loop: Header=BB2_707 Depth=2
	v_or_b32_sdwa v11, v11, s68 dst_sel:DWORD dst_unused:UNUSED_PAD src0_sel:BYTE_3 src1_sel:DWORD
	v_cmp_eq_u64_e32 vcc, 0, v[28:29]
	v_cndmask_b32_e32 v10, v11, v10, vcc
; %bb.743:                              ;   in Loop: Header=BB2_707 Depth=2
	s_or_b64 exec, exec, s[16:17]
	v_lshrrev_b16_e32 v28, 8, v54
	v_cmp_ne_u16_e32 vcc, 0, v28
	v_mov_b32_e32 v11, 0
	s_and_saveexec_b64 s[16:17], vcc
	s_cbranch_execz .LBB2_751
; %bb.744:                              ;   in Loop: Header=BB2_707 Depth=2
	v_cmp_ne_u16_e32 vcc, s66, v28
	v_bfrev_b32_e32 v11, 1
	s_and_saveexec_b64 s[46:47], vcc
	s_cbranch_execz .LBB2_750
; %bb.745:                              ;   in Loop: Header=BB2_707 Depth=2
	v_and_b32_e32 v11, 0x7c, v28
	v_and_b32_e32 v27, 3, v28
	v_cmp_ne_u32_e32 vcc, s64, v11
                                        ; implicit-def: $vgpr11
	s_and_saveexec_b64 s[48:49], vcc
	s_xor_b64 s[48:49], exec, s[48:49]
	s_cbranch_execz .LBB2_747
; %bb.746:                              ;   in Loop: Header=BB2_707 Depth=2
	v_ffbh_u32_e32 v31, v27
	v_min_u32_e32 v31, 32, v31
	v_mov_b32_e32 v29, v55
	v_subrev_u32_e32 v32, 29, v31
	v_bfe_u32 v11, v28, 2, 5
	v_lshlrev_b64 v[28:29], v32, v[28:29]
	v_sub_u32_e32 v29, 30, v31
	v_cmp_eq_u32_e32 vcc, 0, v11
	v_and_b32_e32 v28, 3, v28
	v_cndmask_b32_e32 v11, v11, v29, vcc
	v_cndmask_b32_e32 v27, v27, v28, vcc
	v_lshlrev_b32_e32 v28, 16, v54
	v_lshl_add_u32 v11, v11, 23, v7
	v_and_or_b32 v11, v28, s65, v11
	v_lshl_or_b32 v11, v27, 21, v11
                                        ; implicit-def: $vgpr27
.LBB2_747:                              ;   in Loop: Header=BB2_707 Depth=2
	s_andn2_saveexec_b64 s[48:49], s[48:49]
; %bb.748:                              ;   in Loop: Header=BB2_707 Depth=2
	v_cmp_lt_i16_e32 vcc, -1, v54
	v_cndmask_b32_e32 v11, v24, v25, vcc
	v_cmp_eq_u32_e32 vcc, 0, v27
	v_cndmask_b32_e32 v11, v6, v11, vcc
; %bb.749:                              ;   in Loop: Header=BB2_707 Depth=2
	s_or_b64 exec, exec, s[48:49]
.LBB2_750:                              ;   in Loop: Header=BB2_707 Depth=2
	s_or_b64 exec, exec, s[46:47]
.LBB2_751:                              ;   in Loop: Header=BB2_707 Depth=2
	s_or_b64 exec, exec, s[16:17]
	v_mul_f32_e32 v31, v62, v11
	v_and_b32_sdwa v27, v31, s66 dst_sel:DWORD dst_unused:UNUSED_PAD src0_sel:BYTE_3 src1_sel:DWORD
	v_and_b32_e32 v32, 0x7f800000, v31
	v_mov_b32_e32 v33, v55
	v_and_b32_e32 v28, 0x7fffff, v31
	v_mov_b32_e32 v29, v55
	v_or_b32_e32 v11, 0x7b, v27
	v_cmp_ne_u64_e32 vcc, s[38:39], v[32:33]
	s_and_saveexec_b64 s[16:17], vcc
	s_xor_b64 s[46:47], exec, s[16:17]
	s_cbranch_execz .LBB2_761
; %bb.752:                              ;   in Loop: Header=BB2_707 Depth=2
	v_and_b32_e32 v32, 0x7fffffff, v31
	v_mov_b32_e32 v33, v55
	v_cmp_gt_u64_e32 vcc, s[40:41], v[32:33]
	s_and_saveexec_b64 s[48:49], vcc
	s_cbranch_execz .LBB2_760
; %bb.753:                              ;   in Loop: Header=BB2_707 Depth=2
	v_cmp_ne_u32_e32 vcc, 0, v31
	v_mov_b32_e32 v11, 0
	s_and_saveexec_b64 s[50:51], vcc
	s_cbranch_execz .LBB2_759
; %bb.754:                              ;   in Loop: Header=BB2_707 Depth=2
	v_bfe_u32 v11, v31, 23, 8
	v_sub_u32_e32 v32, 0x71, v11
	v_cmp_gt_u32_e32 vcc, s67, v11
	v_add_u32_e32 v31, 0xffffff81, v11
	v_cndmask_b32_e32 v32, 0, v32, vcc
	v_cmp_eq_u32_e32 vcc, 0, v11
	v_cndmask_b32_e32 v11, v31, v48, vcc
	v_cndmask_b32_e32 v31, v32, v49, vcc
	v_or_b32_e32 v33, 0x800000, v28
	v_add_u32_e32 v32, 21, v31
	v_cndmask_b32_e32 v28, v33, v28, vcc
	v_lshlrev_b64 v[32:33], v32, -1
	v_not_b32_e32 v32, v32
	v_and_b32_e32 v36, v28, v32
	v_add_u32_e32 v32, 20, v31
	v_lshrrev_b64 v[28:29], v31, v[28:29]
	v_not_b32_e32 v33, v33
	v_lshlrev_b64 v[40:41], v32, 1
	v_lshrrev_b32_e32 v32, 23, v28
	v_and_b32_e32 v37, 0, v33
	v_add3_u32 v32, v31, v11, v32
	v_bfe_u32 v11, v28, 21, 1
	v_add_u32_e32 v11, -1, v11
	v_cmp_eq_u64_e32 vcc, v[36:37], v[40:41]
	v_cndmask_b32_e32 v11, 0, v11, vcc
	v_add_u32_e32 v11, v11, v28
	v_and_b32_e32 v11, 0x1fffff, v11
	v_add_co_u32_e32 v28, vcc, v11, v28
	v_add_u32_e32 v31, 14, v32
	v_addc_co_u32_e32 v29, vcc, 0, v29, vcc
	v_cmp_ne_u32_e32 vcc, 0, v31
                                        ; implicit-def: $vgpr11
	s_and_saveexec_b64 s[16:17], vcc
	s_xor_b64 s[16:17], exec, s[16:17]
; %bb.755:                              ;   in Loop: Header=BB2_707 Depth=2
	v_add_u32_e32 v11, 15, v32
	v_cmp_lt_u64_e32 vcc, s[42:43], v[28:29]
	v_cndmask_b32_e32 v11, v31, v11, vcc
	v_cndmask_b32_e64 v31, 0, 1, vcc
	v_lshrrev_b64 v[28:29], v31, v[28:29]
; %bb.756:                              ;   in Loop: Header=BB2_707 Depth=2
	s_andn2_saveexec_b64 s[16:17], s[16:17]
; %bb.757:                              ;   in Loop: Header=BB2_707 Depth=2
	v_bfe_u32 v11, v28, 23, 1
; %bb.758:                              ;   in Loop: Header=BB2_707 Depth=2
	s_or_b64 exec, exec, s[16:17]
	v_lshrrev_b64 v[28:29], 21, v[28:29]
	v_cmp_gt_i32_e32 vcc, 32, v11
	v_cndmask_b32_e32 v29, 0, v29, vcc
	v_cndmask_b32_e32 v28, 3, v28, vcc
	v_cmp_eq_u32_e32 vcc, 0, v11
	v_min_i32_e32 v11, 31, v11
	v_cmp_eq_u64_e64 s[16:17], 0, v[28:29]
	v_lshlrev_b32_e32 v11, 2, v11
	v_and_or_b32 v11, v28, 3, v11
	s_and_b64 s[16:17], vcc, s[16:17]
	v_cndmask_b32_e64 v11, v11, 0, s[16:17]
	v_or_b32_e32 v11, v11, v27
.LBB2_759:                              ;   in Loop: Header=BB2_707 Depth=2
	s_or_b64 exec, exec, s[50:51]
.LBB2_760:                              ;   in Loop: Header=BB2_707 Depth=2
	s_or_b64 exec, exec, s[48:49]
                                        ; implicit-def: $vgpr31
                                        ; implicit-def: $vgpr28_vgpr29
.LBB2_761:                              ;   in Loop: Header=BB2_707 Depth=2
	s_andn2_saveexec_b64 s[16:17], s[46:47]
; %bb.762:                              ;   in Loop: Header=BB2_707 Depth=2
	v_or_b32_sdwa v27, v31, s68 dst_sel:DWORD dst_unused:UNUSED_PAD src0_sel:BYTE_3 src1_sel:DWORD
	v_cmp_eq_u64_e32 vcc, 0, v[28:29]
	v_cndmask_b32_e32 v11, v27, v11, vcc
; %bb.763:                              ;   in Loop: Header=BB2_707 Depth=2
	s_or_b64 exec, exec, s[16:17]
	v_and_b32_sdwa v29, v54, s62 dst_sel:DWORD dst_unused:UNUSED_PAD src0_sel:WORD_1 src1_sel:DWORD
	v_lshrrev_b32_e32 v28, 16, v54
	v_cmp_ne_u16_e32 vcc, 0, v29
	v_mov_b32_e32 v27, 0
	s_and_saveexec_b64 s[16:17], vcc
	s_cbranch_execz .LBB2_771
; %bb.764:                              ;   in Loop: Header=BB2_707 Depth=2
	v_cmp_ne_u16_e32 vcc, s66, v29
	v_bfrev_b32_e32 v27, 1
	s_and_saveexec_b64 s[46:47], vcc
	s_cbranch_execz .LBB2_770
; %bb.765:                              ;   in Loop: Header=BB2_707 Depth=2
	v_and_b32_e32 v27, 0x7c0000, v54
	v_bfe_u32 v29, v54, 16, 2
	v_cmp_ne_u32_e32 vcc, s69, v27
                                        ; implicit-def: $vgpr27
	s_and_saveexec_b64 s[48:49], vcc
	s_xor_b64 s[48:49], exec, s[48:49]
	s_cbranch_execz .LBB2_767
; %bb.766:                              ;   in Loop: Header=BB2_707 Depth=2
	v_ffbh_u32_e32 v31, v29
	v_min_u32_e32 v31, 32, v31
	v_lshrrev_b32_e32 v28, 16, v54
	v_bfe_u32 v27, v54, 18, 5
	v_subrev_u32_e32 v32, 29, v31
	v_lshlrev_b64 v[32:33], v32, v[28:29]
	v_sub_u32_e32 v28, 30, v31
	v_cmp_eq_u32_e32 vcc, 0, v27
	v_and_b32_e32 v31, 3, v32
	v_cndmask_b32_e32 v27, v27, v28, vcc
	v_cndmask_b32_e32 v28, v29, v31, vcc
	v_lshlrev_b32_e32 v29, 8, v54
	v_lshl_add_u32 v27, v27, 23, v7
	v_and_or_b32 v27, v29, s65, v27
	v_lshl_or_b32 v27, v28, 21, v27
                                        ; implicit-def: $vgpr29
                                        ; implicit-def: $vgpr28
.LBB2_767:                              ;   in Loop: Header=BB2_707 Depth=2
	s_andn2_saveexec_b64 s[48:49], s[48:49]
; %bb.768:                              ;   in Loop: Header=BB2_707 Depth=2
	v_cmp_gt_i16_sdwa vcc, sext(v28), v47 src0_sel:BYTE_0 src1_sel:DWORD
	v_cndmask_b32_e32 v27, v24, v25, vcc
	v_cmp_eq_u32_e32 vcc, 0, v29
	v_cndmask_b32_e32 v27, v6, v27, vcc
; %bb.769:                              ;   in Loop: Header=BB2_707 Depth=2
	s_or_b64 exec, exec, s[48:49]
.LBB2_770:                              ;   in Loop: Header=BB2_707 Depth=2
	s_or_b64 exec, exec, s[46:47]
.LBB2_771:                              ;   in Loop: Header=BB2_707 Depth=2
	s_or_b64 exec, exec, s[16:17]
	v_mul_f32_e32 v29, v62, v27
	v_and_b32_sdwa v27, v29, s66 dst_sel:DWORD dst_unused:UNUSED_PAD src0_sel:BYTE_3 src1_sel:DWORD
	v_and_b32_e32 v32, 0x7f800000, v29
	v_mov_b32_e32 v33, v55
	v_and_b32_e32 v40, 0x7fffff, v29
	v_mov_b32_e32 v41, v55
	v_or_b32_e32 v28, 0x7b, v27
	v_cmp_ne_u64_e32 vcc, s[38:39], v[32:33]
	s_and_saveexec_b64 s[16:17], vcc
	s_xor_b64 s[46:47], exec, s[16:17]
	s_cbranch_execz .LBB2_781
; %bb.772:                              ;   in Loop: Header=BB2_707 Depth=2
	v_and_b32_e32 v32, 0x7fffffff, v29
	v_mov_b32_e32 v33, v55
	v_cmp_gt_u64_e32 vcc, s[40:41], v[32:33]
	s_and_saveexec_b64 s[48:49], vcc
	s_cbranch_execz .LBB2_780
; %bb.773:                              ;   in Loop: Header=BB2_707 Depth=2
	v_cmp_ne_u32_e32 vcc, 0, v29
	v_mov_b32_e32 v28, 0
	s_and_saveexec_b64 s[50:51], vcc
	s_cbranch_execz .LBB2_779
; %bb.774:                              ;   in Loop: Header=BB2_707 Depth=2
	v_bfe_u32 v28, v29, 23, 8
	v_sub_u32_e32 v31, 0x71, v28
	v_cmp_gt_u32_e32 vcc, s67, v28
	v_cndmask_b32_e32 v31, 0, v31, vcc
	v_cmp_eq_u32_e32 vcc, 0, v28
	v_cndmask_b32_e32 v31, v31, v49, vcc
	v_add_u32_e32 v29, 0xffffff81, v28
	v_add_u32_e32 v28, 21, v31
	v_or_b32_e32 v32, 0x800000, v40
	v_cndmask_b32_e32 v33, v29, v48, vcc
	v_lshlrev_b64 v[28:29], v28, -1
	v_cndmask_b32_e32 v40, v32, v40, vcc
	v_not_b32_e32 v28, v28
	v_and_b32_e32 v28, v40, v28
	v_add_u32_e32 v32, 20, v31
	v_lshrrev_b64 v[40:41], v31, v[40:41]
	v_not_b32_e32 v29, v29
	v_lshlrev_b64 v[36:37], v32, 1
	v_lshrrev_b32_e32 v32, 23, v40
	v_and_b32_e32 v29, 0, v29
	v_add3_u32 v33, v31, v33, v32
	v_bfe_u32 v31, v40, 21, 1
	v_add_u32_e32 v31, -1, v31
	v_cmp_eq_u64_e32 vcc, v[28:29], v[36:37]
	v_cndmask_b32_e32 v28, 0, v31, vcc
	v_add_u32_e32 v28, v28, v40
	v_and_b32_e32 v28, 0x1fffff, v28
	v_add_co_u32_e32 v28, vcc, v28, v40
	v_add_u32_e32 v32, 14, v33
	v_addc_co_u32_e32 v29, vcc, 0, v41, vcc
	v_cmp_ne_u32_e32 vcc, 0, v32
                                        ; implicit-def: $vgpr31
	s_and_saveexec_b64 s[16:17], vcc
	s_xor_b64 s[16:17], exec, s[16:17]
; %bb.775:                              ;   in Loop: Header=BB2_707 Depth=2
	v_add_u32_e32 v31, 15, v33
	v_cmp_lt_u64_e32 vcc, s[42:43], v[28:29]
	v_cndmask_b32_e32 v31, v32, v31, vcc
	v_cndmask_b32_e64 v32, 0, 1, vcc
	v_lshrrev_b64 v[28:29], v32, v[28:29]
; %bb.776:                              ;   in Loop: Header=BB2_707 Depth=2
	s_andn2_saveexec_b64 s[16:17], s[16:17]
; %bb.777:                              ;   in Loop: Header=BB2_707 Depth=2
	v_bfe_u32 v31, v28, 23, 1
; %bb.778:                              ;   in Loop: Header=BB2_707 Depth=2
	s_or_b64 exec, exec, s[16:17]
	v_lshrrev_b64 v[28:29], 21, v[28:29]
	v_cmp_gt_i32_e32 vcc, 32, v31
	v_cndmask_b32_e32 v29, 0, v29, vcc
	v_cndmask_b32_e32 v28, 3, v28, vcc
	v_cmp_eq_u64_e64 s[16:17], 0, v[28:29]
	v_min_i32_e32 v29, 31, v31
	v_cmp_eq_u32_e32 vcc, 0, v31
	v_lshlrev_b32_e32 v29, 2, v29
	v_and_or_b32 v28, v28, 3, v29
	s_and_b64 s[16:17], vcc, s[16:17]
	v_cndmask_b32_e64 v28, v28, 0, s[16:17]
	v_or_b32_e32 v28, v28, v27
.LBB2_779:                              ;   in Loop: Header=BB2_707 Depth=2
	s_or_b64 exec, exec, s[50:51]
.LBB2_780:                              ;   in Loop: Header=BB2_707 Depth=2
	s_or_b64 exec, exec, s[48:49]
                                        ; implicit-def: $vgpr29
                                        ; implicit-def: $vgpr40_vgpr41
.LBB2_781:                              ;   in Loop: Header=BB2_707 Depth=2
	s_andn2_saveexec_b64 s[16:17], s[46:47]
; %bb.782:                              ;   in Loop: Header=BB2_707 Depth=2
	v_or_b32_sdwa v27, v29, s68 dst_sel:DWORD dst_unused:UNUSED_PAD src0_sel:BYTE_3 src1_sel:DWORD
	v_cmp_eq_u64_e32 vcc, 0, v[40:41]
	v_cndmask_b32_e32 v28, v27, v28, vcc
; %bb.783:                              ;   in Loop: Header=BB2_707 Depth=2
	s_or_b64 exec, exec, s[16:17]
	v_cmp_lt_u32_e32 vcc, s37, v54
	v_mov_b32_e32 v27, 0
	s_and_saveexec_b64 s[16:17], vcc
	s_cbranch_execz .LBB2_791
; %bb.784:                              ;   in Loop: Header=BB2_707 Depth=2
	v_lshrrev_b32_e32 v40, 24, v54
	v_cmp_ne_u32_e32 vcc, s66, v40
	v_bfrev_b32_e32 v27, 1
	s_and_saveexec_b64 s[46:47], vcc
	s_cbranch_execz .LBB2_790
; %bb.785:                              ;   in Loop: Header=BB2_707 Depth=2
	v_and_b32_e32 v27, 0x7c000000, v54
	v_bfe_u32 v29, v54, 24, 2
	v_cmp_ne_u32_e32 vcc, s70, v27
                                        ; implicit-def: $vgpr27
	s_and_saveexec_b64 s[48:49], vcc
	s_xor_b64 s[48:49], exec, s[48:49]
	s_cbranch_execz .LBB2_787
; %bb.786:                              ;   in Loop: Header=BB2_707 Depth=2
	v_ffbh_u32_e32 v31, v29
	v_bfe_u32 v27, v54, 26, 5
	v_min_u32_e32 v31, 32, v31
	v_subrev_u32_e32 v32, 29, v31
	v_sub_u32_e32 v31, 30, v31
	v_cmp_eq_u32_e32 vcc, 0, v27
	v_lshlrev_b64 v[32:33], v32, v[40:41]
	v_cndmask_b32_e32 v27, v27, v31, vcc
	v_and_b32_e32 v32, 3, v32
	v_lshl_add_u32 v27, v27, 23, v7
	v_cndmask_b32_e32 v29, v29, v32, vcc
	v_and_or_b32 v27, v54, s65, v27
	v_lshl_or_b32 v27, v29, 21, v27
                                        ; implicit-def: $vgpr29
.LBB2_787:                              ;   in Loop: Header=BB2_707 Depth=2
	s_andn2_saveexec_b64 s[48:49], s[48:49]
; %bb.788:                              ;   in Loop: Header=BB2_707 Depth=2
	v_cmp_lt_i32_e32 vcc, -1, v54
	v_cndmask_b32_e32 v27, v24, v25, vcc
	v_cmp_eq_u32_e32 vcc, 0, v29
	v_cndmask_b32_e32 v27, v6, v27, vcc
; %bb.789:                              ;   in Loop: Header=BB2_707 Depth=2
	s_or_b64 exec, exec, s[48:49]
.LBB2_790:                              ;   in Loop: Header=BB2_707 Depth=2
	s_or_b64 exec, exec, s[46:47]
.LBB2_791:                              ;   in Loop: Header=BB2_707 Depth=2
	s_or_b64 exec, exec, s[16:17]
	v_mul_f32_e32 v29, v62, v27
	v_and_b32_sdwa v27, v29, s66 dst_sel:DWORD dst_unused:UNUSED_PAD src0_sel:BYTE_3 src1_sel:DWORD
	v_and_b32_e32 v32, 0x7f800000, v29
	v_mov_b32_e32 v33, v55
	v_and_b32_e32 v54, 0x7fffff, v29
	v_or_b32_e32 v31, 0x7b, v27
	v_cmp_ne_u64_e32 vcc, s[38:39], v[32:33]
	s_and_saveexec_b64 s[16:17], vcc
	s_xor_b64 s[46:47], exec, s[16:17]
	s_cbranch_execz .LBB2_801
; %bb.792:                              ;   in Loop: Header=BB2_707 Depth=2
	v_and_b32_e32 v32, 0x7fffffff, v29
	v_mov_b32_e32 v33, v55
	v_cmp_gt_u64_e32 vcc, s[40:41], v[32:33]
	s_and_saveexec_b64 s[48:49], vcc
	s_cbranch_execz .LBB2_800
; %bb.793:                              ;   in Loop: Header=BB2_707 Depth=2
	v_cmp_ne_u32_e32 vcc, 0, v29
	v_mov_b32_e32 v31, 0
	s_and_saveexec_b64 s[50:51], vcc
	s_cbranch_execz .LBB2_799
; %bb.794:                              ;   in Loop: Header=BB2_707 Depth=2
	v_bfe_u32 v29, v29, 23, 8
	v_sub_u32_e32 v32, 0x71, v29
	v_cmp_gt_u32_e32 vcc, s67, v29
	v_add_u32_e32 v31, 0xffffff81, v29
	v_cndmask_b32_e32 v32, 0, v32, vcc
	v_cmp_eq_u32_e32 vcc, 0, v29
	v_cndmask_b32_e32 v29, v31, v48, vcc
	v_cndmask_b32_e32 v31, v32, v49, vcc
	v_or_b32_e32 v33, 0x800000, v54
	v_add_u32_e32 v32, 21, v31
	v_cndmask_b32_e32 v54, v33, v54, vcc
	v_lshlrev_b64 v[32:33], v32, -1
	v_not_b32_e32 v32, v32
	v_and_b32_e32 v36, v54, v32
	v_add_u32_e32 v32, 20, v31
	v_lshrrev_b64 v[60:61], v31, v[54:55]
	v_not_b32_e32 v33, v33
	v_lshlrev_b64 v[40:41], v32, 1
	v_lshrrev_b32_e32 v32, 23, v60
	v_and_b32_e32 v37, 0, v33
	v_add3_u32 v32, v31, v29, v32
	v_bfe_u32 v29, v60, 21, 1
	v_add_u32_e32 v29, -1, v29
	v_cmp_eq_u64_e32 vcc, v[36:37], v[40:41]
	v_cndmask_b32_e32 v29, 0, v29, vcc
	v_add_u32_e32 v29, v29, v60
	v_and_b32_e32 v29, 0x1fffff, v29
	v_add_co_u32_e32 v40, vcc, v29, v60
	v_add_u32_e32 v31, 14, v32
	v_addc_co_u32_e32 v41, vcc, 0, v61, vcc
	v_cmp_ne_u32_e32 vcc, 0, v31
                                        ; implicit-def: $vgpr29
	s_and_saveexec_b64 s[16:17], vcc
	s_xor_b64 s[16:17], exec, s[16:17]
; %bb.795:                              ;   in Loop: Header=BB2_707 Depth=2
	v_add_u32_e32 v29, 15, v32
	v_cmp_lt_u64_e32 vcc, s[42:43], v[40:41]
	v_cndmask_b32_e32 v29, v31, v29, vcc
	v_cndmask_b32_e64 v31, 0, 1, vcc
	v_lshrrev_b64 v[40:41], v31, v[40:41]
; %bb.796:                              ;   in Loop: Header=BB2_707 Depth=2
	s_andn2_saveexec_b64 s[16:17], s[16:17]
; %bb.797:                              ;   in Loop: Header=BB2_707 Depth=2
	v_bfe_u32 v29, v40, 23, 1
; %bb.798:                              ;   in Loop: Header=BB2_707 Depth=2
	s_or_b64 exec, exec, s[16:17]
	v_lshrrev_b64 v[32:33], 21, v[40:41]
	v_cmp_gt_i32_e32 vcc, 32, v29
	v_cndmask_b32_e32 v33, 0, v33, vcc
	v_cndmask_b32_e32 v32, 3, v32, vcc
	v_cmp_eq_u32_e32 vcc, 0, v29
	v_min_i32_e32 v29, 31, v29
	v_cmp_eq_u64_e64 s[16:17], 0, v[32:33]
	v_lshlrev_b32_e32 v29, 2, v29
	v_and_or_b32 v29, v32, 3, v29
	s_and_b64 s[16:17], vcc, s[16:17]
	v_cndmask_b32_e64 v29, v29, 0, s[16:17]
	v_or_b32_e32 v31, v29, v27
.LBB2_799:                              ;   in Loop: Header=BB2_707 Depth=2
	s_or_b64 exec, exec, s[50:51]
.LBB2_800:                              ;   in Loop: Header=BB2_707 Depth=2
	s_or_b64 exec, exec, s[48:49]
                                        ; implicit-def: $vgpr29
.LBB2_801:                              ;   in Loop: Header=BB2_707 Depth=2
	s_andn2_saveexec_b64 s[16:17], s[46:47]
; %bb.802:                              ;   in Loop: Header=BB2_707 Depth=2
	v_or_b32_sdwa v27, v29, s68 dst_sel:DWORD dst_unused:UNUSED_PAD src0_sel:BYTE_3 src1_sel:DWORD
	v_cmp_eq_u64_e32 vcc, 0, v[54:55]
	v_cndmask_b32_e32 v31, v27, v31, vcc
; %bb.803:                              ;   in Loop: Header=BB2_707 Depth=2
	s_or_b64 exec, exec, s[16:17]
	v_alignbit_b32 v54, v21, v22, v23
	v_cmp_ne_u16_sdwa vcc, v54, v55 src0_sel:BYTE_0 src1_sel:DWORD
	v_mov_b32_e32 v21, 0
	s_and_saveexec_b64 s[16:17], vcc
	s_cbranch_execz .LBB2_811
; %bb.804:                              ;   in Loop: Header=BB2_707 Depth=2
	v_cmp_ne_u16_sdwa vcc, sext(v54), s63 src0_sel:BYTE_0 src1_sel:DWORD
	v_bfrev_b32_e32 v21, 1
	s_and_saveexec_b64 s[46:47], vcc
	s_cbranch_execz .LBB2_810
; %bb.805:                              ;   in Loop: Header=BB2_707 Depth=2
	v_and_b32_e32 v21, 0x7c, v54
	v_and_b32_e32 v22, 3, v54
	v_cmp_ne_u32_e32 vcc, s64, v21
                                        ; implicit-def: $vgpr21
	s_and_saveexec_b64 s[48:49], vcc
	s_xor_b64 s[48:49], exec, s[48:49]
	s_cbranch_execz .LBB2_807
; %bb.806:                              ;   in Loop: Header=BB2_707 Depth=2
	v_ffbh_u32_e32 v23, v22
	v_bfe_u32 v21, v54, 2, 5
	v_min_u32_e32 v23, 32, v23
	v_subrev_u32_e32 v27, 29, v23
	v_sub_u32_e32 v23, 30, v23
	v_cmp_eq_u32_e32 vcc, 0, v21
	v_lshlrev_b64 v[32:33], v27, v[54:55]
	v_cndmask_b32_e32 v21, v21, v23, vcc
	v_and_b32_e32 v27, 3, v32
	v_lshlrev_b32_e32 v23, 24, v54
	v_lshl_add_u32 v21, v21, 23, v7
	v_cndmask_b32_e32 v22, v22, v27, vcc
	v_and_or_b32 v21, v23, s65, v21
	v_lshl_or_b32 v21, v22, 21, v21
                                        ; implicit-def: $vgpr22
.LBB2_807:                              ;   in Loop: Header=BB2_707 Depth=2
	s_andn2_saveexec_b64 s[48:49], s[48:49]
; %bb.808:                              ;   in Loop: Header=BB2_707 Depth=2
	v_cmp_gt_i16_sdwa vcc, sext(v54), v47 src0_sel:BYTE_0 src1_sel:DWORD
	v_cndmask_b32_e32 v21, v24, v25, vcc
	v_cmp_eq_u32_e32 vcc, 0, v22
	v_cndmask_b32_e32 v21, v6, v21, vcc
; %bb.809:                              ;   in Loop: Header=BB2_707 Depth=2
	s_or_b64 exec, exec, s[48:49]
.LBB2_810:                              ;   in Loop: Header=BB2_707 Depth=2
	s_or_b64 exec, exec, s[46:47]
.LBB2_811:                              ;   in Loop: Header=BB2_707 Depth=2
	s_or_b64 exec, exec, s[16:17]
	v_mul_f32_e32 v22, v62, v21
	v_and_b32_sdwa v21, v22, s66 dst_sel:DWORD dst_unused:UNUSED_PAD src0_sel:BYTE_3 src1_sel:DWORD
	v_and_b32_e32 v32, 0x7f800000, v22
	v_mov_b32_e32 v33, v55
	v_and_b32_e32 v40, 0x7fffff, v22
	v_mov_b32_e32 v41, v55
	v_or_b32_e32 v29, 0x7b, v21
	v_cmp_ne_u64_e32 vcc, s[38:39], v[32:33]
	s_and_saveexec_b64 s[16:17], vcc
	s_xor_b64 s[46:47], exec, s[16:17]
	s_cbranch_execz .LBB2_821
; %bb.812:                              ;   in Loop: Header=BB2_707 Depth=2
	v_and_b32_e32 v32, 0x7fffffff, v22
	v_mov_b32_e32 v33, v55
	v_cmp_gt_u64_e32 vcc, s[40:41], v[32:33]
	s_and_saveexec_b64 s[48:49], vcc
	s_cbranch_execz .LBB2_820
; %bb.813:                              ;   in Loop: Header=BB2_707 Depth=2
	v_cmp_ne_u32_e32 vcc, 0, v22
	v_mov_b32_e32 v29, 0
	s_and_saveexec_b64 s[50:51], vcc
	s_cbranch_execz .LBB2_819
; %bb.814:                              ;   in Loop: Header=BB2_707 Depth=2
	v_bfe_u32 v22, v22, 23, 8
	v_sub_u32_e32 v27, 0x71, v22
	v_cmp_gt_u32_e32 vcc, s67, v22
	v_cndmask_b32_e32 v27, 0, v27, vcc
	v_cmp_eq_u32_e32 vcc, 0, v22
	v_cndmask_b32_e32 v27, v27, v49, vcc
	v_add_u32_e32 v23, 0xffffff81, v22
	v_add_u32_e32 v22, 21, v27
	v_or_b32_e32 v29, 0x800000, v40
	v_cndmask_b32_e32 v38, v23, v48, vcc
	v_lshlrev_b64 v[22:23], v22, -1
	v_cndmask_b32_e32 v40, v29, v40, vcc
	v_not_b32_e32 v22, v22
	v_and_b32_e32 v32, v40, v22
	v_add_u32_e32 v22, 20, v27
	v_lshrrev_b64 v[40:41], v27, v[40:41]
	v_not_b32_e32 v23, v23
	v_lshlrev_b64 v[36:37], v22, 1
	v_lshrrev_b32_e32 v22, 23, v40
	v_and_b32_e32 v33, 0, v23
	v_add3_u32 v27, v27, v38, v22
	v_bfe_u32 v22, v40, 21, 1
	v_add_u32_e32 v22, -1, v22
	v_cmp_eq_u64_e32 vcc, v[32:33], v[36:37]
	v_cndmask_b32_e32 v22, 0, v22, vcc
	v_add_u32_e32 v22, v22, v40
	v_and_b32_e32 v22, 0x1fffff, v22
	v_add_co_u32_e32 v40, vcc, v22, v40
	v_add_u32_e32 v23, 14, v27
	v_addc_co_u32_e32 v41, vcc, 0, v41, vcc
	v_cmp_ne_u32_e32 vcc, 0, v23
                                        ; implicit-def: $vgpr22
	s_and_saveexec_b64 s[16:17], vcc
	s_xor_b64 s[16:17], exec, s[16:17]
; %bb.815:                              ;   in Loop: Header=BB2_707 Depth=2
	v_add_u32_e32 v22, 15, v27
	v_cmp_lt_u64_e32 vcc, s[42:43], v[40:41]
	v_cndmask_b32_e32 v22, v23, v22, vcc
	v_cndmask_b32_e64 v23, 0, 1, vcc
	v_lshrrev_b64 v[40:41], v23, v[40:41]
; %bb.816:                              ;   in Loop: Header=BB2_707 Depth=2
	s_andn2_saveexec_b64 s[16:17], s[16:17]
; %bb.817:                              ;   in Loop: Header=BB2_707 Depth=2
	v_bfe_u32 v22, v40, 23, 1
; %bb.818:                              ;   in Loop: Header=BB2_707 Depth=2
	s_or_b64 exec, exec, s[16:17]
	v_lshrrev_b64 v[32:33], 21, v[40:41]
	v_cmp_gt_i32_e32 vcc, 32, v22
	v_cndmask_b32_e32 v33, 0, v33, vcc
	v_cndmask_b32_e32 v32, 3, v32, vcc
	v_cmp_eq_u32_e32 vcc, 0, v22
	v_min_i32_e32 v22, 31, v22
	v_cmp_eq_u64_e64 s[16:17], 0, v[32:33]
	v_lshlrev_b32_e32 v22, 2, v22
	v_and_or_b32 v22, v32, 3, v22
	s_and_b64 s[16:17], vcc, s[16:17]
	v_cndmask_b32_e64 v22, v22, 0, s[16:17]
	v_or_b32_e32 v29, v22, v21
.LBB2_819:                              ;   in Loop: Header=BB2_707 Depth=2
	s_or_b64 exec, exec, s[50:51]
.LBB2_820:                              ;   in Loop: Header=BB2_707 Depth=2
	s_or_b64 exec, exec, s[48:49]
                                        ; implicit-def: $vgpr22
                                        ; implicit-def: $vgpr40_vgpr41
.LBB2_821:                              ;   in Loop: Header=BB2_707 Depth=2
	s_andn2_saveexec_b64 s[16:17], s[46:47]
; %bb.822:                              ;   in Loop: Header=BB2_707 Depth=2
	v_or_b32_sdwa v21, v22, s68 dst_sel:DWORD dst_unused:UNUSED_PAD src0_sel:BYTE_3 src1_sel:DWORD
	v_cmp_eq_u64_e32 vcc, 0, v[40:41]
	v_cndmask_b32_e32 v29, v21, v29, vcc
; %bb.823:                              ;   in Loop: Header=BB2_707 Depth=2
	s_or_b64 exec, exec, s[16:17]
	v_lshrrev_b16_e32 v40, 8, v54
	v_cmp_ne_u16_e32 vcc, 0, v40
	v_mov_b32_e32 v21, 0
	s_and_saveexec_b64 s[16:17], vcc
	s_cbranch_execz .LBB2_831
; %bb.824:                              ;   in Loop: Header=BB2_707 Depth=2
	v_cmp_ne_u16_e32 vcc, s66, v40
	v_bfrev_b32_e32 v21, 1
	s_and_saveexec_b64 s[46:47], vcc
	s_cbranch_execz .LBB2_830
; %bb.825:                              ;   in Loop: Header=BB2_707 Depth=2
	v_and_b32_e32 v21, 0x7c, v40
	v_and_b32_e32 v22, 3, v40
	v_cmp_ne_u32_e32 vcc, s64, v21
                                        ; implicit-def: $vgpr21
	s_and_saveexec_b64 s[48:49], vcc
	s_xor_b64 s[48:49], exec, s[48:49]
	s_cbranch_execz .LBB2_827
; %bb.826:                              ;   in Loop: Header=BB2_707 Depth=2
	v_ffbh_u32_e32 v23, v22
	v_bfe_u32 v21, v40, 2, 5
	v_min_u32_e32 v23, 32, v23
	v_mov_b32_e32 v41, v55
	v_subrev_u32_e32 v27, 29, v23
	v_sub_u32_e32 v23, 30, v23
	v_cmp_eq_u32_e32 vcc, 0, v21
	v_lshlrev_b64 v[32:33], v27, v[40:41]
	v_cndmask_b32_e32 v21, v21, v23, vcc
	v_and_b32_e32 v27, 3, v32
	v_lshlrev_b32_e32 v23, 16, v54
	v_lshl_add_u32 v21, v21, 23, v7
	v_cndmask_b32_e32 v22, v22, v27, vcc
	v_and_or_b32 v21, v23, s65, v21
	v_lshl_or_b32 v21, v22, 21, v21
                                        ; implicit-def: $vgpr22
.LBB2_827:                              ;   in Loop: Header=BB2_707 Depth=2
	s_andn2_saveexec_b64 s[48:49], s[48:49]
; %bb.828:                              ;   in Loop: Header=BB2_707 Depth=2
	v_cmp_lt_i16_e32 vcc, -1, v54
	v_cndmask_b32_e32 v21, v24, v25, vcc
	v_cmp_eq_u32_e32 vcc, 0, v22
	v_cndmask_b32_e32 v21, v6, v21, vcc
; %bb.829:                              ;   in Loop: Header=BB2_707 Depth=2
	s_or_b64 exec, exec, s[48:49]
.LBB2_830:                              ;   in Loop: Header=BB2_707 Depth=2
	s_or_b64 exec, exec, s[46:47]
.LBB2_831:                              ;   in Loop: Header=BB2_707 Depth=2
	s_or_b64 exec, exec, s[16:17]
	v_mul_f32_e32 v22, v62, v21
	v_and_b32_sdwa v21, v22, s66 dst_sel:DWORD dst_unused:UNUSED_PAD src0_sel:BYTE_3 src1_sel:DWORD
	v_and_b32_e32 v36, 0x7f800000, v22
	v_mov_b32_e32 v37, v55
	v_and_b32_e32 v40, 0x7fffff, v22
	v_mov_b32_e32 v41, v55
	v_or_b32_e32 v33, 0x7b, v21
	v_cmp_ne_u64_e32 vcc, s[38:39], v[36:37]
	s_and_saveexec_b64 s[16:17], vcc
	s_xor_b64 s[46:47], exec, s[16:17]
	s_cbranch_execz .LBB2_841
; %bb.832:                              ;   in Loop: Header=BB2_707 Depth=2
	v_and_b32_e32 v36, 0x7fffffff, v22
	v_mov_b32_e32 v37, v55
	v_cmp_gt_u64_e32 vcc, s[40:41], v[36:37]
	s_and_saveexec_b64 s[48:49], vcc
	s_cbranch_execz .LBB2_840
; %bb.833:                              ;   in Loop: Header=BB2_707 Depth=2
	v_cmp_ne_u32_e32 vcc, 0, v22
	v_mov_b32_e32 v33, 0
	s_and_saveexec_b64 s[50:51], vcc
	s_cbranch_execz .LBB2_839
; %bb.834:                              ;   in Loop: Header=BB2_707 Depth=2
	v_bfe_u32 v22, v22, 23, 8
	v_sub_u32_e32 v27, 0x71, v22
	v_cmp_gt_u32_e32 vcc, s67, v22
	v_cndmask_b32_e32 v27, 0, v27, vcc
	v_cmp_eq_u32_e32 vcc, 0, v22
	v_cndmask_b32_e32 v27, v27, v49, vcc
	v_add_u32_e32 v23, 0xffffff81, v22
	v_add_u32_e32 v22, 21, v27
	v_or_b32_e32 v32, 0x800000, v40
	v_cndmask_b32_e32 v38, v23, v48, vcc
	v_lshlrev_b64 v[22:23], v22, -1
	v_cndmask_b32_e32 v40, v32, v40, vcc
	v_not_b32_e32 v22, v22
	v_and_b32_e32 v32, v40, v22
	v_add_u32_e32 v22, 20, v27
	v_lshrrev_b64 v[40:41], v27, v[40:41]
	v_not_b32_e32 v23, v23
	v_lshlrev_b64 v[36:37], v22, 1
	v_lshrrev_b32_e32 v22, 23, v40
	v_and_b32_e32 v33, 0, v23
	v_add3_u32 v27, v27, v38, v22
	v_bfe_u32 v22, v40, 21, 1
	v_add_u32_e32 v22, -1, v22
	v_cmp_eq_u64_e32 vcc, v[32:33], v[36:37]
	v_cndmask_b32_e32 v22, 0, v22, vcc
	v_add_u32_e32 v22, v22, v40
	v_and_b32_e32 v22, 0x1fffff, v22
	v_add_co_u32_e32 v40, vcc, v22, v40
	v_add_u32_e32 v23, 14, v27
	v_addc_co_u32_e32 v41, vcc, 0, v41, vcc
	v_cmp_ne_u32_e32 vcc, 0, v23
                                        ; implicit-def: $vgpr22
	s_and_saveexec_b64 s[16:17], vcc
	s_xor_b64 s[16:17], exec, s[16:17]
; %bb.835:                              ;   in Loop: Header=BB2_707 Depth=2
	v_add_u32_e32 v22, 15, v27
	v_cmp_lt_u64_e32 vcc, s[42:43], v[40:41]
	v_cndmask_b32_e32 v22, v23, v22, vcc
	v_cndmask_b32_e64 v23, 0, 1, vcc
	v_lshrrev_b64 v[40:41], v23, v[40:41]
; %bb.836:                              ;   in Loop: Header=BB2_707 Depth=2
	s_andn2_saveexec_b64 s[16:17], s[16:17]
; %bb.837:                              ;   in Loop: Header=BB2_707 Depth=2
	v_bfe_u32 v22, v40, 23, 1
; %bb.838:                              ;   in Loop: Header=BB2_707 Depth=2
	s_or_b64 exec, exec, s[16:17]
	v_lshrrev_b64 v[32:33], 21, v[40:41]
	v_cmp_gt_i32_e32 vcc, 32, v22
	v_cndmask_b32_e32 v33, 0, v33, vcc
	v_cndmask_b32_e32 v32, 3, v32, vcc
	v_cmp_eq_u32_e32 vcc, 0, v22
	v_min_i32_e32 v22, 31, v22
	v_cmp_eq_u64_e64 s[16:17], 0, v[32:33]
	v_lshlrev_b32_e32 v22, 2, v22
	v_and_or_b32 v22, v32, 3, v22
	s_and_b64 s[16:17], vcc, s[16:17]
	v_cndmask_b32_e64 v22, v22, 0, s[16:17]
	v_or_b32_e32 v33, v22, v21
.LBB2_839:                              ;   in Loop: Header=BB2_707 Depth=2
	s_or_b64 exec, exec, s[50:51]
.LBB2_840:                              ;   in Loop: Header=BB2_707 Depth=2
	s_or_b64 exec, exec, s[48:49]
                                        ; implicit-def: $vgpr22
                                        ; implicit-def: $vgpr40_vgpr41
.LBB2_841:                              ;   in Loop: Header=BB2_707 Depth=2
	s_andn2_saveexec_b64 s[16:17], s[46:47]
; %bb.842:                              ;   in Loop: Header=BB2_707 Depth=2
	v_or_b32_sdwa v21, v22, s68 dst_sel:DWORD dst_unused:UNUSED_PAD src0_sel:BYTE_3 src1_sel:DWORD
	v_cmp_eq_u64_e32 vcc, 0, v[40:41]
	v_cndmask_b32_e32 v33, v21, v33, vcc
; %bb.843:                              ;   in Loop: Header=BB2_707 Depth=2
	s_or_b64 exec, exec, s[16:17]
	v_and_b32_sdwa v22, v54, s62 dst_sel:DWORD dst_unused:UNUSED_PAD src0_sel:WORD_1 src1_sel:DWORD
	v_lshrrev_b32_e32 v40, 16, v54
	v_cmp_ne_u16_e32 vcc, 0, v22
	v_mov_b32_e32 v21, 0
	s_and_saveexec_b64 s[16:17], vcc
	s_cbranch_execz .LBB2_851
; %bb.844:                              ;   in Loop: Header=BB2_707 Depth=2
	v_cmp_ne_u16_e32 vcc, s66, v22
	v_bfrev_b32_e32 v21, 1
	s_and_saveexec_b64 s[46:47], vcc
	s_cbranch_execz .LBB2_850
; %bb.845:                              ;   in Loop: Header=BB2_707 Depth=2
	v_and_b32_e32 v21, 0x7c0000, v54
	v_bfe_u32 v22, v54, 16, 2
	v_cmp_ne_u32_e32 vcc, s69, v21
                                        ; implicit-def: $vgpr21
	s_and_saveexec_b64 s[48:49], vcc
	s_xor_b64 s[48:49], exec, s[48:49]
	s_cbranch_execz .LBB2_847
; %bb.846:                              ;   in Loop: Header=BB2_707 Depth=2
	v_ffbh_u32_e32 v23, v22
	v_bfe_u32 v21, v54, 18, 5
	v_min_u32_e32 v23, 32, v23
	v_subrev_u32_e32 v27, 29, v23
	v_sub_u32_e32 v23, 30, v23
	v_cmp_eq_u32_e32 vcc, 0, v21
	v_lshlrev_b64 v[36:37], v27, v[40:41]
	v_cndmask_b32_e32 v21, v21, v23, vcc
	v_and_b32_e32 v27, 3, v36
	v_lshlrev_b32_e32 v23, 8, v54
	v_lshl_add_u32 v21, v21, 23, v7
	v_cndmask_b32_e32 v22, v22, v27, vcc
	v_and_or_b32 v21, v23, s65, v21
	v_lshl_or_b32 v21, v22, 21, v21
                                        ; implicit-def: $vgpr22
                                        ; implicit-def: $vgpr40
.LBB2_847:                              ;   in Loop: Header=BB2_707 Depth=2
	s_andn2_saveexec_b64 s[48:49], s[48:49]
; %bb.848:                              ;   in Loop: Header=BB2_707 Depth=2
	v_cmp_gt_i16_sdwa vcc, sext(v40), v47 src0_sel:BYTE_0 src1_sel:DWORD
	v_cndmask_b32_e32 v21, v24, v25, vcc
	v_cmp_eq_u32_e32 vcc, 0, v22
	v_cndmask_b32_e32 v21, v6, v21, vcc
; %bb.849:                              ;   in Loop: Header=BB2_707 Depth=2
	s_or_b64 exec, exec, s[48:49]
.LBB2_850:                              ;   in Loop: Header=BB2_707 Depth=2
	s_or_b64 exec, exec, s[46:47]
.LBB2_851:                              ;   in Loop: Header=BB2_707 Depth=2
	s_or_b64 exec, exec, s[16:17]
	v_mul_f32_e32 v22, v62, v21
	v_and_b32_sdwa v21, v22, s66 dst_sel:DWORD dst_unused:UNUSED_PAD src0_sel:BYTE_3 src1_sel:DWORD
	v_and_b32_e32 v36, 0x7f800000, v22
	v_mov_b32_e32 v37, v55
	v_and_b32_e32 v40, 0x7fffff, v22
	v_mov_b32_e32 v41, v55
	v_or_b32_e32 v27, 0x7b, v21
	v_cmp_ne_u64_e32 vcc, s[38:39], v[36:37]
	s_and_saveexec_b64 s[16:17], vcc
	s_xor_b64 s[46:47], exec, s[16:17]
	s_cbranch_execz .LBB2_861
; %bb.852:                              ;   in Loop: Header=BB2_707 Depth=2
	v_and_b32_e32 v36, 0x7fffffff, v22
	v_mov_b32_e32 v37, v55
	v_cmp_gt_u64_e32 vcc, s[40:41], v[36:37]
	s_and_saveexec_b64 s[48:49], vcc
	s_cbranch_execz .LBB2_860
; %bb.853:                              ;   in Loop: Header=BB2_707 Depth=2
	v_cmp_ne_u32_e32 vcc, 0, v22
	v_mov_b32_e32 v27, 0
	s_and_saveexec_b64 s[50:51], vcc
	s_cbranch_execz .LBB2_859
; %bb.854:                              ;   in Loop: Header=BB2_707 Depth=2
	v_bfe_u32 v22, v22, 23, 8
	v_sub_u32_e32 v27, 0x71, v22
	v_cmp_gt_u32_e32 vcc, s67, v22
	v_cndmask_b32_e32 v27, 0, v27, vcc
	v_cmp_eq_u32_e32 vcc, 0, v22
	v_cndmask_b32_e32 v27, v27, v49, vcc
	v_add_u32_e32 v23, 0xffffff81, v22
	v_add_u32_e32 v22, 21, v27
	v_or_b32_e32 v32, 0x800000, v40
	v_cndmask_b32_e32 v38, v23, v48, vcc
	v_lshlrev_b64 v[22:23], v22, -1
	v_cndmask_b32_e32 v40, v32, v40, vcc
	v_not_b32_e32 v22, v22
	v_and_b32_e32 v36, v40, v22
	v_add_u32_e32 v22, 20, v27
	v_lshrrev_b64 v[40:41], v27, v[40:41]
	v_not_b32_e32 v23, v23
	v_lshlrev_b64 v[60:61], v22, 1
	v_lshrrev_b32_e32 v22, 23, v40
	v_and_b32_e32 v37, 0, v23
	v_add3_u32 v27, v27, v38, v22
	v_bfe_u32 v22, v40, 21, 1
	v_add_u32_e32 v22, -1, v22
	v_cmp_eq_u64_e32 vcc, v[36:37], v[60:61]
	v_cndmask_b32_e32 v22, 0, v22, vcc
	v_add_u32_e32 v22, v22, v40
	v_and_b32_e32 v22, 0x1fffff, v22
	v_add_co_u32_e32 v40, vcc, v22, v40
	v_add_u32_e32 v23, 14, v27
	v_addc_co_u32_e32 v41, vcc, 0, v41, vcc
	v_cmp_ne_u32_e32 vcc, 0, v23
                                        ; implicit-def: $vgpr22
	s_and_saveexec_b64 s[16:17], vcc
	s_xor_b64 s[16:17], exec, s[16:17]
; %bb.855:                              ;   in Loop: Header=BB2_707 Depth=2
	v_add_u32_e32 v22, 15, v27
	v_cmp_lt_u64_e32 vcc, s[42:43], v[40:41]
	v_cndmask_b32_e32 v22, v23, v22, vcc
	v_cndmask_b32_e64 v23, 0, 1, vcc
	v_lshrrev_b64 v[40:41], v23, v[40:41]
; %bb.856:                              ;   in Loop: Header=BB2_707 Depth=2
	s_andn2_saveexec_b64 s[16:17], s[16:17]
; %bb.857:                              ;   in Loop: Header=BB2_707 Depth=2
	v_bfe_u32 v22, v40, 23, 1
; %bb.858:                              ;   in Loop: Header=BB2_707 Depth=2
	s_or_b64 exec, exec, s[16:17]
	v_lshrrev_b64 v[36:37], 21, v[40:41]
	v_cmp_gt_i32_e32 vcc, 32, v22
	v_cndmask_b32_e32 v37, 0, v37, vcc
	v_cndmask_b32_e32 v36, 3, v36, vcc
	v_cmp_eq_u32_e32 vcc, 0, v22
	v_min_i32_e32 v22, 31, v22
	v_lshlrev_b32_e32 v22, 2, v22
	v_cmp_eq_u64_e64 s[16:17], 0, v[36:37]
	v_and_b32_e32 v22, 0xfc, v22
	v_and_or_b32 v22, v36, 3, v22
	s_and_b64 s[16:17], vcc, s[16:17]
	v_cndmask_b32_e64 v22, v22, 0, s[16:17]
	v_or_b32_e32 v27, v22, v21
.LBB2_859:                              ;   in Loop: Header=BB2_707 Depth=2
	s_or_b64 exec, exec, s[50:51]
.LBB2_860:                              ;   in Loop: Header=BB2_707 Depth=2
	s_or_b64 exec, exec, s[48:49]
                                        ; implicit-def: $vgpr22
                                        ; implicit-def: $vgpr40_vgpr41
.LBB2_861:                              ;   in Loop: Header=BB2_707 Depth=2
	s_andn2_saveexec_b64 s[16:17], s[46:47]
; %bb.862:                              ;   in Loop: Header=BB2_707 Depth=2
	v_or_b32_sdwa v21, v22, s68 dst_sel:DWORD dst_unused:UNUSED_PAD src0_sel:BYTE_3 src1_sel:DWORD
	v_cmp_eq_u64_e32 vcc, 0, v[40:41]
	v_cndmask_b32_e32 v27, v21, v27, vcc
; %bb.863:                              ;   in Loop: Header=BB2_707 Depth=2
	s_or_b64 exec, exec, s[16:17]
	v_cmp_lt_u32_e32 vcc, s37, v54
	v_mov_b32_e32 v21, 0
	s_and_saveexec_b64 s[16:17], vcc
	s_cbranch_execz .LBB2_871
; %bb.864:                              ;   in Loop: Header=BB2_707 Depth=2
	v_lshrrev_b32_e32 v40, 24, v54
	v_cmp_ne_u32_e32 vcc, s66, v40
	v_bfrev_b32_e32 v21, 1
	s_and_saveexec_b64 s[46:47], vcc
	s_cbranch_execz .LBB2_870
; %bb.865:                              ;   in Loop: Header=BB2_707 Depth=2
	v_and_b32_e32 v21, 0x7c000000, v54
	v_bfe_u32 v22, v54, 24, 2
	v_cmp_ne_u32_e32 vcc, s70, v21
                                        ; implicit-def: $vgpr21
	s_and_saveexec_b64 s[48:49], vcc
	s_xor_b64 s[48:49], exec, s[48:49]
	s_cbranch_execz .LBB2_867
; %bb.866:                              ;   in Loop: Header=BB2_707 Depth=2
	v_ffbh_u32_e32 v23, v22
	v_bfe_u32 v21, v54, 26, 5
	v_min_u32_e32 v23, 32, v23
	v_subrev_u32_e32 v32, 29, v23
	v_sub_u32_e32 v23, 30, v23
	v_cmp_eq_u32_e32 vcc, 0, v21
	v_lshlrev_b64 v[36:37], v32, v[40:41]
	v_cndmask_b32_e32 v21, v21, v23, vcc
	v_and_b32_e32 v32, 3, v36
	v_lshl_add_u32 v21, v21, 23, v7
	v_cndmask_b32_e32 v22, v22, v32, vcc
	v_and_or_b32 v21, v54, s65, v21
	v_lshl_or_b32 v21, v22, 21, v21
                                        ; implicit-def: $vgpr22
.LBB2_867:                              ;   in Loop: Header=BB2_707 Depth=2
	s_andn2_saveexec_b64 s[48:49], s[48:49]
; %bb.868:                              ;   in Loop: Header=BB2_707 Depth=2
	v_cmp_lt_i32_e32 vcc, -1, v54
	v_cndmask_b32_e32 v21, v24, v25, vcc
	v_cmp_eq_u32_e32 vcc, 0, v22
	v_cndmask_b32_e32 v21, v6, v21, vcc
; %bb.869:                              ;   in Loop: Header=BB2_707 Depth=2
	s_or_b64 exec, exec, s[48:49]
.LBB2_870:                              ;   in Loop: Header=BB2_707 Depth=2
	s_or_b64 exec, exec, s[46:47]
.LBB2_871:                              ;   in Loop: Header=BB2_707 Depth=2
	s_or_b64 exec, exec, s[16:17]
	v_mul_f32_e32 v22, v62, v21
	v_and_b32_sdwa v21, v22, s66 dst_sel:DWORD dst_unused:UNUSED_PAD src0_sel:BYTE_3 src1_sel:DWORD
	v_and_b32_e32 v36, 0x7f800000, v22
	v_mov_b32_e32 v37, v55
	v_and_b32_e32 v54, 0x7fffff, v22
	v_or_b32_e32 v23, 0x7b, v21
	v_cmp_ne_u64_e32 vcc, s[38:39], v[36:37]
	s_and_saveexec_b64 s[16:17], vcc
	s_xor_b64 s[46:47], exec, s[16:17]
	s_cbranch_execz .LBB2_881
; %bb.872:                              ;   in Loop: Header=BB2_707 Depth=2
	v_and_b32_e32 v36, 0x7fffffff, v22
	v_mov_b32_e32 v37, v55
	v_cmp_gt_u64_e32 vcc, s[40:41], v[36:37]
	s_and_saveexec_b64 s[48:49], vcc
	s_cbranch_execz .LBB2_880
; %bb.873:                              ;   in Loop: Header=BB2_707 Depth=2
	v_cmp_ne_u32_e32 vcc, 0, v22
	v_mov_b32_e32 v23, 0
	s_and_saveexec_b64 s[50:51], vcc
	s_cbranch_execz .LBB2_879
; %bb.874:                              ;   in Loop: Header=BB2_707 Depth=2
	v_bfe_u32 v22, v22, 23, 8
	v_sub_u32_e32 v32, 0x71, v22
	v_cmp_gt_u32_e32 vcc, s67, v22
	v_cndmask_b32_e32 v32, 0, v32, vcc
	v_cmp_eq_u32_e32 vcc, 0, v22
	v_cndmask_b32_e32 v32, v32, v49, vcc
	v_add_u32_e32 v23, 0xffffff81, v22
	v_add_u32_e32 v22, 21, v32
	v_or_b32_e32 v36, 0x800000, v54
	v_cndmask_b32_e32 v38, v23, v48, vcc
	v_lshlrev_b64 v[22:23], v22, -1
	v_cndmask_b32_e32 v54, v36, v54, vcc
	v_not_b32_e32 v22, v22
	v_and_b32_e32 v36, v54, v22
	v_add_u32_e32 v22, 20, v32
	v_lshrrev_b64 v[60:61], v32, v[54:55]
	v_not_b32_e32 v23, v23
	v_lshlrev_b64 v[40:41], v22, 1
	v_lshrrev_b32_e32 v22, 23, v60
	v_and_b32_e32 v37, 0, v23
	v_add3_u32 v32, v32, v38, v22
	v_bfe_u32 v22, v60, 21, 1
	v_add_u32_e32 v22, -1, v22
	v_cmp_eq_u64_e32 vcc, v[36:37], v[40:41]
	v_cndmask_b32_e32 v22, 0, v22, vcc
	v_add_u32_e32 v22, v22, v60
	v_and_b32_e32 v22, 0x1fffff, v22
	v_add_co_u32_e32 v40, vcc, v22, v60
	v_add_u32_e32 v23, 14, v32
	v_addc_co_u32_e32 v41, vcc, 0, v61, vcc
	v_cmp_ne_u32_e32 vcc, 0, v23
                                        ; implicit-def: $vgpr22
	s_and_saveexec_b64 s[16:17], vcc
	s_xor_b64 s[16:17], exec, s[16:17]
; %bb.875:                              ;   in Loop: Header=BB2_707 Depth=2
	v_add_u32_e32 v22, 15, v32
	v_cmp_lt_u64_e32 vcc, s[42:43], v[40:41]
	v_cndmask_b32_e32 v22, v23, v22, vcc
	v_cndmask_b32_e64 v23, 0, 1, vcc
	v_lshrrev_b64 v[40:41], v23, v[40:41]
; %bb.876:                              ;   in Loop: Header=BB2_707 Depth=2
	s_andn2_saveexec_b64 s[16:17], s[16:17]
; %bb.877:                              ;   in Loop: Header=BB2_707 Depth=2
	v_bfe_u32 v22, v40, 23, 1
; %bb.878:                              ;   in Loop: Header=BB2_707 Depth=2
	s_or_b64 exec, exec, s[16:17]
	v_lshrrev_b64 v[36:37], 21, v[40:41]
	v_cmp_gt_i32_e32 vcc, 32, v22
	v_cndmask_b32_e32 v37, 0, v37, vcc
	v_cndmask_b32_e32 v36, 3, v36, vcc
	v_cmp_eq_u32_e32 vcc, 0, v22
	v_min_i32_e32 v22, 31, v22
	v_lshlrev_b32_e32 v22, 2, v22
	v_cmp_eq_u64_e64 s[16:17], 0, v[36:37]
	v_and_b32_e32 v22, 0xfc, v22
	v_and_or_b32 v22, v36, 3, v22
	s_and_b64 s[16:17], vcc, s[16:17]
	v_cndmask_b32_e64 v22, v22, 0, s[16:17]
	v_or_b32_e32 v23, v22, v21
.LBB2_879:                              ;   in Loop: Header=BB2_707 Depth=2
	s_or_b64 exec, exec, s[50:51]
.LBB2_880:                              ;   in Loop: Header=BB2_707 Depth=2
	s_or_b64 exec, exec, s[48:49]
                                        ; implicit-def: $vgpr22
.LBB2_881:                              ;   in Loop: Header=BB2_707 Depth=2
	s_andn2_saveexec_b64 s[16:17], s[46:47]
; %bb.882:                              ;   in Loop: Header=BB2_707 Depth=2
	v_or_b32_sdwa v21, v22, s68 dst_sel:DWORD dst_unused:UNUSED_PAD src0_sel:BYTE_3 src1_sel:DWORD
	v_cmp_eq_u64_e32 vcc, 0, v[54:55]
	v_cndmask_b32_e32 v23, v21, v23, vcc
; %bb.883:                              ;   in Loop: Header=BB2_707 Depth=2
	s_or_b64 exec, exec, s[16:17]
	s_waitcnt vmcnt(0)
	v_cmp_ne_u16_sdwa vcc, v2, v55 src0_sel:BYTE_0 src1_sel:DWORD
	v_mov_b32_e32 v22, 0
	v_mov_b32_e32 v21, 0
	s_and_saveexec_b64 s[16:17], vcc
	s_cbranch_execz .LBB2_891
; %bb.884:                              ;   in Loop: Header=BB2_707 Depth=2
	v_cmp_ne_u16_sdwa vcc, sext(v2), s63 src0_sel:BYTE_0 src1_sel:DWORD
	v_bfrev_b32_e32 v21, 1
	s_and_saveexec_b64 s[46:47], vcc
	s_cbranch_execz .LBB2_890
; %bb.885:                              ;   in Loop: Header=BB2_707 Depth=2
	v_and_b32_e32 v21, 0x7c, v2
	v_and_b32_e32 v32, 3, v2
	v_cmp_ne_u32_e32 vcc, s64, v21
                                        ; implicit-def: $vgpr21
	s_and_saveexec_b64 s[48:49], vcc
	s_xor_b64 s[48:49], exec, s[48:49]
	s_cbranch_execz .LBB2_887
; %bb.886:                              ;   in Loop: Header=BB2_707 Depth=2
	v_ffbh_u32_e32 v36, v32
	v_min_u32_e32 v38, 32, v36
	v_bfe_u32 v21, v2, 2, 5
	v_subrev_u32_e32 v36, 29, v38
	v_lshlrev_b64 v[36:37], v36, v[2:3]
	v_sub_u32_e32 v3, 30, v38
	v_cmp_eq_u32_e32 vcc, 0, v21
	v_and_b32_e32 v36, 3, v36
	v_cndmask_b32_e32 v3, v21, v3, vcc
	v_cndmask_b32_e32 v21, v32, v36, vcc
	v_lshlrev_b32_e32 v32, 24, v2
	v_lshl_add_u32 v3, v3, 23, v7
	v_and_or_b32 v3, v32, s65, v3
	v_lshl_or_b32 v21, v21, 21, v3
                                        ; implicit-def: $vgpr32
.LBB2_887:                              ;   in Loop: Header=BB2_707 Depth=2
	s_andn2_saveexec_b64 s[48:49], s[48:49]
; %bb.888:                              ;   in Loop: Header=BB2_707 Depth=2
	v_cmp_gt_i16_sdwa vcc, sext(v2), v47 src0_sel:BYTE_0 src1_sel:DWORD
	v_cndmask_b32_e32 v3, v24, v25, vcc
	v_cmp_eq_u32_e32 vcc, 0, v32
	v_cndmask_b32_e32 v21, v6, v3, vcc
; %bb.889:                              ;   in Loop: Header=BB2_707 Depth=2
	s_or_b64 exec, exec, s[48:49]
.LBB2_890:                              ;   in Loop: Header=BB2_707 Depth=2
	s_or_b64 exec, exec, s[46:47]
.LBB2_891:                              ;   in Loop: Header=BB2_707 Depth=2
	s_or_b64 exec, exec, s[16:17]
	v_cmp_ne_u16_sdwa vcc, v10, v55 src0_sel:BYTE_0 src1_sel:DWORD
	s_and_saveexec_b64 s[16:17], vcc
	s_cbranch_execz .LBB2_899
; %bb.892:                              ;   in Loop: Header=BB2_707 Depth=2
	v_cmp_ne_u16_sdwa vcc, sext(v10), s63 src0_sel:BYTE_0 src1_sel:DWORD
	v_bfrev_b32_e32 v22, 1
	s_and_saveexec_b64 s[46:47], vcc
	s_cbranch_execz .LBB2_898
; %bb.893:                              ;   in Loop: Header=BB2_707 Depth=2
	v_and_b32_e32 v22, 0x7c, v10
	v_and_b32_e32 v3, 3, v10
	v_cmp_ne_u32_e32 vcc, s64, v22
                                        ; implicit-def: $vgpr22
	s_and_saveexec_b64 s[48:49], vcc
	s_xor_b64 s[48:49], exec, s[48:49]
	s_cbranch_execz .LBB2_895
; %bb.894:                              ;   in Loop: Header=BB2_707 Depth=2
	v_ffbh_u32_e32 v32, v3
	v_bfe_u32 v22, v10, 2, 5
	v_min_u32_e32 v32, 32, v32
	v_subrev_u32_e32 v36, 29, v32
	v_sub_u32_e32 v32, 30, v32
	v_cmp_eq_u32_e32 vcc, 0, v22
	v_lshlrev_b64 v[36:37], v36, v[10:11]
	v_cndmask_b32_e32 v22, v22, v32, vcc
	v_and_b32_e32 v36, 3, v36
	v_lshlrev_b32_e32 v32, 24, v10
	v_lshl_add_u32 v22, v22, 23, v7
	v_cndmask_b32_e32 v3, v3, v36, vcc
	v_and_or_b32 v22, v32, s65, v22
	v_lshl_or_b32 v22, v3, 21, v22
                                        ; implicit-def: $vgpr3
.LBB2_895:                              ;   in Loop: Header=BB2_707 Depth=2
	s_andn2_saveexec_b64 s[48:49], s[48:49]
; %bb.896:                              ;   in Loop: Header=BB2_707 Depth=2
	v_cmp_gt_i16_sdwa vcc, sext(v10), v47 src0_sel:BYTE_0 src1_sel:DWORD
	v_cndmask_b32_e32 v22, v24, v25, vcc
	v_cmp_eq_u32_e32 vcc, 0, v3
	v_cndmask_b32_e32 v22, v6, v22, vcc
; %bb.897:                              ;   in Loop: Header=BB2_707 Depth=2
	s_or_b64 exec, exec, s[48:49]
.LBB2_898:                              ;   in Loop: Header=BB2_707 Depth=2
	s_or_b64 exec, exec, s[46:47]
.LBB2_899:                              ;   in Loop: Header=BB2_707 Depth=2
	s_or_b64 exec, exec, s[16:17]
	v_add_f32_e32 v22, v21, v22
	v_and_b32_sdwa v3, v22, s66 dst_sel:DWORD dst_unused:UNUSED_PAD src0_sel:BYTE_3 src1_sel:DWORD
	v_and_b32_e32 v36, 0x7f800000, v22
	v_mov_b32_e32 v37, v55
	v_and_b32_e32 v54, 0x7fffff, v22
	v_or_b32_e32 v21, 0x7b, v3
	v_cmp_ne_u64_e32 vcc, s[38:39], v[36:37]
	s_and_saveexec_b64 s[16:17], vcc
	s_xor_b64 s[46:47], exec, s[16:17]
	s_cbranch_execz .LBB2_909
; %bb.900:                              ;   in Loop: Header=BB2_707 Depth=2
	v_and_b32_e32 v36, 0x7fffffff, v22
	v_mov_b32_e32 v37, v55
	v_cmp_gt_u64_e32 vcc, s[40:41], v[36:37]
	s_and_saveexec_b64 s[48:49], vcc
	s_cbranch_execz .LBB2_908
; %bb.901:                              ;   in Loop: Header=BB2_707 Depth=2
	v_cmp_ne_u32_e32 vcc, 0, v22
	v_mov_b32_e32 v21, 0
	s_and_saveexec_b64 s[50:51], vcc
	s_cbranch_execz .LBB2_907
; %bb.902:                              ;   in Loop: Header=BB2_707 Depth=2
	v_bfe_u32 v21, v22, 23, 8
	v_sub_u32_e32 v32, 0x71, v21
	v_cmp_gt_u32_e32 vcc, s67, v21
	v_add_u32_e32 v22, 0xffffff81, v21
	v_cndmask_b32_e32 v32, 0, v32, vcc
	v_cmp_eq_u32_e32 vcc, 0, v21
	v_cndmask_b32_e32 v21, v22, v48, vcc
	v_cndmask_b32_e32 v22, v32, v49, vcc
	v_or_b32_e32 v36, 0x800000, v54
	v_add_u32_e32 v32, 21, v22
	v_cndmask_b32_e32 v54, v36, v54, vcc
	v_lshlrev_b64 v[36:37], v32, -1
	v_not_b32_e32 v32, v37
	v_and_b32_e32 v37, 0, v32
	v_add_u32_e32 v32, 20, v22
	v_lshrrev_b64 v[60:61], v22, v[54:55]
	v_not_b32_e32 v36, v36
	v_lshlrev_b64 v[40:41], v32, 1
	v_lshrrev_b32_e32 v32, 23, v60
	v_and_b32_e32 v36, v54, v36
	v_add3_u32 v32, v22, v21, v32
	v_bfe_u32 v21, v60, 21, 1
	v_add_u32_e32 v21, -1, v21
	v_cmp_eq_u64_e32 vcc, v[36:37], v[40:41]
	v_cndmask_b32_e32 v21, 0, v21, vcc
	v_add_u32_e32 v21, v21, v60
	v_and_b32_e32 v21, 0x1fffff, v21
	v_add_co_u32_e32 v40, vcc, v21, v60
	v_add_u32_e32 v22, 14, v32
	v_addc_co_u32_e32 v41, vcc, 0, v61, vcc
	v_cmp_ne_u32_e32 vcc, 0, v22
                                        ; implicit-def: $vgpr21
	s_and_saveexec_b64 s[16:17], vcc
	s_xor_b64 s[16:17], exec, s[16:17]
; %bb.903:                              ;   in Loop: Header=BB2_707 Depth=2
	v_add_u32_e32 v21, 15, v32
	v_cmp_lt_u64_e32 vcc, s[42:43], v[40:41]
	v_cndmask_b32_e32 v21, v22, v21, vcc
	v_cndmask_b32_e64 v22, 0, 1, vcc
	v_lshrrev_b64 v[40:41], v22, v[40:41]
; %bb.904:                              ;   in Loop: Header=BB2_707 Depth=2
	s_andn2_saveexec_b64 s[16:17], s[16:17]
; %bb.905:                              ;   in Loop: Header=BB2_707 Depth=2
	v_bfe_u32 v21, v40, 23, 1
; %bb.906:                              ;   in Loop: Header=BB2_707 Depth=2
	s_or_b64 exec, exec, s[16:17]
	v_lshrrev_b64 v[36:37], 21, v[40:41]
	v_cmp_gt_i32_e32 vcc, 32, v21
	v_cndmask_b32_e32 v37, 0, v37, vcc
	v_cndmask_b32_e32 v36, 3, v36, vcc
	v_cmp_eq_u32_e32 vcc, 0, v21
	v_min_i32_e32 v21, 31, v21
	v_cmp_eq_u64_e64 s[16:17], 0, v[36:37]
	v_lshlrev_b32_e32 v21, 2, v21
	v_and_or_b32 v21, v36, 3, v21
	s_and_b64 s[16:17], vcc, s[16:17]
	v_cndmask_b32_e64 v21, v21, 0, s[16:17]
	v_or_b32_e32 v21, v21, v3
.LBB2_907:                              ;   in Loop: Header=BB2_707 Depth=2
	s_or_b64 exec, exec, s[50:51]
.LBB2_908:                              ;   in Loop: Header=BB2_707 Depth=2
	s_or_b64 exec, exec, s[48:49]
                                        ; implicit-def: $vgpr22
.LBB2_909:                              ;   in Loop: Header=BB2_707 Depth=2
	s_andn2_saveexec_b64 s[16:17], s[46:47]
; %bb.910:                              ;   in Loop: Header=BB2_707 Depth=2
	v_or_b32_sdwa v3, v22, s68 dst_sel:DWORD dst_unused:UNUSED_PAD src0_sel:BYTE_3 src1_sel:DWORD
	v_cmp_eq_u64_e32 vcc, 0, v[54:55]
	v_cndmask_b32_e32 v21, v3, v21, vcc
; %bb.911:                              ;   in Loop: Header=BB2_707 Depth=2
	s_or_b64 exec, exec, s[16:17]
	v_lshrrev_b16_e32 v54, 8, v2
	v_cmp_ne_u16_e32 vcc, 0, v54
	v_mov_b32_e32 v3, 0
	v_mov_b32_e32 v22, 0
	s_and_saveexec_b64 s[16:17], vcc
	s_cbranch_execz .LBB2_919
; %bb.912:                              ;   in Loop: Header=BB2_707 Depth=2
	v_cmp_ne_u16_e32 vcc, s66, v54
	v_bfrev_b32_e32 v22, 1
	s_and_saveexec_b64 s[46:47], vcc
	s_cbranch_execz .LBB2_918
; %bb.913:                              ;   in Loop: Header=BB2_707 Depth=2
	v_and_b32_e32 v22, 0x7c, v54
	v_and_b32_e32 v32, 3, v54
	v_cmp_ne_u32_e32 vcc, s64, v22
                                        ; implicit-def: $vgpr22
	s_and_saveexec_b64 s[48:49], vcc
	s_xor_b64 s[48:49], exec, s[48:49]
	s_cbranch_execz .LBB2_915
; %bb.914:                              ;   in Loop: Header=BB2_707 Depth=2
	v_ffbh_u32_e32 v36, v32
	v_min_u32_e32 v38, 32, v36
	v_subrev_u32_e32 v36, 29, v38
	v_bfe_u32 v22, v54, 2, 5
	v_lshlrev_b64 v[36:37], v36, v[54:55]
	v_sub_u32_e32 v37, 30, v38
	v_cmp_eq_u32_e32 vcc, 0, v22
	v_and_b32_e32 v36, 3, v36
	v_cndmask_b32_e32 v22, v22, v37, vcc
	v_cndmask_b32_e32 v32, v32, v36, vcc
	v_lshlrev_b32_e32 v36, 16, v2
	v_lshl_add_u32 v22, v22, 23, v7
	v_and_or_b32 v22, v36, s65, v22
	v_lshl_or_b32 v22, v32, 21, v22
                                        ; implicit-def: $vgpr32
.LBB2_915:                              ;   in Loop: Header=BB2_707 Depth=2
	s_andn2_saveexec_b64 s[48:49], s[48:49]
; %bb.916:                              ;   in Loop: Header=BB2_707 Depth=2
	v_cmp_lt_i16_e32 vcc, -1, v2
	v_cndmask_b32_e32 v22, v24, v25, vcc
	v_cmp_eq_u32_e32 vcc, 0, v32
	v_cndmask_b32_e32 v22, v6, v22, vcc
; %bb.917:                              ;   in Loop: Header=BB2_707 Depth=2
	s_or_b64 exec, exec, s[48:49]
.LBB2_918:                              ;   in Loop: Header=BB2_707 Depth=2
	s_or_b64 exec, exec, s[46:47]
.LBB2_919:                              ;   in Loop: Header=BB2_707 Depth=2
	s_or_b64 exec, exec, s[16:17]
	v_perm_b32 v10, v11, v10, s72
	v_lshrrev_b16_e32 v54, 8, v10
	v_cmp_ne_u16_e32 vcc, 0, v54
	s_and_saveexec_b64 s[16:17], vcc
	s_cbranch_execz .LBB2_927
; %bb.920:                              ;   in Loop: Header=BB2_707 Depth=2
	v_cmp_ne_u16_e32 vcc, s66, v54
	v_bfrev_b32_e32 v3, 1
	s_and_saveexec_b64 s[46:47], vcc
	s_cbranch_execz .LBB2_926
; %bb.921:                              ;   in Loop: Header=BB2_707 Depth=2
	v_and_b32_e32 v3, 0x7c, v54
	v_and_b32_e32 v11, 3, v54
	v_cmp_ne_u32_e32 vcc, s64, v3
                                        ; implicit-def: $vgpr3
	s_and_saveexec_b64 s[48:49], vcc
	s_xor_b64 s[48:49], exec, s[48:49]
	s_cbranch_execz .LBB2_923
; %bb.922:                              ;   in Loop: Header=BB2_707 Depth=2
	v_ffbh_u32_e32 v32, v11
	v_bfe_u32 v3, v54, 2, 5
	v_min_u32_e32 v32, 32, v32
	v_subrev_u32_e32 v36, 29, v32
	v_sub_u32_e32 v32, 30, v32
	v_cmp_eq_u32_e32 vcc, 0, v3
	v_lshlrev_b64 v[36:37], v36, v[54:55]
	v_cndmask_b32_e32 v3, v3, v32, vcc
	v_and_b32_e32 v36, 3, v36
	v_lshlrev_b32_e32 v10, 16, v10
	v_lshl_add_u32 v3, v3, 23, v7
	v_cndmask_b32_e32 v11, v11, v36, vcc
	v_and_or_b32 v3, v10, s65, v3
	v_lshl_or_b32 v3, v11, 21, v3
                                        ; implicit-def: $vgpr11
                                        ; implicit-def: $vgpr10
.LBB2_923:                              ;   in Loop: Header=BB2_707 Depth=2
	s_andn2_saveexec_b64 s[48:49], s[48:49]
; %bb.924:                              ;   in Loop: Header=BB2_707 Depth=2
	v_cmp_lt_i16_e32 vcc, -1, v10
	v_cndmask_b32_e32 v3, v24, v25, vcc
	v_cmp_eq_u32_e32 vcc, 0, v11
	v_cndmask_b32_e32 v3, v6, v3, vcc
; %bb.925:                              ;   in Loop: Header=BB2_707 Depth=2
	s_or_b64 exec, exec, s[48:49]
.LBB2_926:                              ;   in Loop: Header=BB2_707 Depth=2
	s_or_b64 exec, exec, s[46:47]
.LBB2_927:                              ;   in Loop: Header=BB2_707 Depth=2
	s_or_b64 exec, exec, s[16:17]
	v_add_f32_e32 v10, v22, v3
	v_and_b32_sdwa v3, v10, s66 dst_sel:DWORD dst_unused:UNUSED_PAD src0_sel:BYTE_3 src1_sel:DWORD
	v_and_b32_e32 v36, 0x7f800000, v10
	v_mov_b32_e32 v37, v55
	v_and_b32_e32 v54, 0x7fffff, v10
	v_or_b32_e32 v32, 0x7b, v3
	v_cmp_ne_u64_e32 vcc, s[38:39], v[36:37]
	s_and_saveexec_b64 s[16:17], vcc
	s_xor_b64 s[46:47], exec, s[16:17]
	s_cbranch_execz .LBB2_937
; %bb.928:                              ;   in Loop: Header=BB2_707 Depth=2
	v_and_b32_e32 v36, 0x7fffffff, v10
	v_mov_b32_e32 v37, v55
	v_cmp_gt_u64_e32 vcc, s[40:41], v[36:37]
	s_and_saveexec_b64 s[48:49], vcc
	s_cbranch_execz .LBB2_936
; %bb.929:                              ;   in Loop: Header=BB2_707 Depth=2
	v_cmp_ne_u32_e32 vcc, 0, v10
	v_mov_b32_e32 v32, 0
	s_and_saveexec_b64 s[50:51], vcc
	s_cbranch_execz .LBB2_935
; %bb.930:                              ;   in Loop: Header=BB2_707 Depth=2
	v_bfe_u32 v10, v10, 23, 8
	v_sub_u32_e32 v22, 0x71, v10
	v_cmp_gt_u32_e32 vcc, s67, v10
	v_cndmask_b32_e32 v22, 0, v22, vcc
	v_cmp_eq_u32_e32 vcc, 0, v10
	v_or_b32_e32 v32, 0x800000, v54
	v_cndmask_b32_e32 v22, v22, v49, vcc
	v_add_u32_e32 v11, 0xffffff81, v10
	v_cndmask_b32_e32 v54, v32, v54, vcc
	v_add_u32_e32 v10, 21, v22
	v_cndmask_b32_e32 v36, v11, v48, vcc
	v_lshlrev_b64 v[10:11], v10, -1
	v_add_u32_e32 v32, 20, v22
	v_lshrrev_b64 v[60:61], v22, v[54:55]
	v_not_b32_e32 v11, v11
	v_not_b32_e32 v10, v10
	v_lshlrev_b64 v[40:41], v32, 1
	v_lshrrev_b32_e32 v32, 23, v60
	v_and_b32_e32 v11, 0, v11
	v_and_b32_e32 v10, v54, v10
	v_add3_u32 v36, v22, v36, v32
	v_bfe_u32 v22, v60, 21, 1
	v_add_u32_e32 v22, -1, v22
	v_cmp_eq_u64_e32 vcc, v[10:11], v[40:41]
	v_cndmask_b32_e32 v10, 0, v22, vcc
	v_add_u32_e32 v10, v10, v60
	v_and_b32_e32 v10, 0x1fffff, v10
	v_add_co_u32_e32 v10, vcc, v10, v60
	v_add_u32_e32 v32, 14, v36
	v_addc_co_u32_e32 v11, vcc, 0, v61, vcc
	v_cmp_ne_u32_e32 vcc, 0, v32
                                        ; implicit-def: $vgpr22
	s_and_saveexec_b64 s[16:17], vcc
	s_xor_b64 s[16:17], exec, s[16:17]
; %bb.931:                              ;   in Loop: Header=BB2_707 Depth=2
	v_add_u32_e32 v22, 15, v36
	v_cmp_lt_u64_e32 vcc, s[42:43], v[10:11]
	v_cndmask_b32_e32 v22, v32, v22, vcc
	v_cndmask_b32_e64 v32, 0, 1, vcc
	v_lshrrev_b64 v[10:11], v32, v[10:11]
; %bb.932:                              ;   in Loop: Header=BB2_707 Depth=2
	s_andn2_saveexec_b64 s[16:17], s[16:17]
; %bb.933:                              ;   in Loop: Header=BB2_707 Depth=2
	v_bfe_u32 v22, v10, 23, 1
; %bb.934:                              ;   in Loop: Header=BB2_707 Depth=2
	s_or_b64 exec, exec, s[16:17]
	v_lshrrev_b64 v[10:11], 21, v[10:11]
	v_cmp_gt_i32_e32 vcc, 32, v22
	v_cndmask_b32_e32 v11, 0, v11, vcc
	v_cndmask_b32_e32 v10, 3, v10, vcc
	v_cmp_eq_u64_e64 s[16:17], 0, v[10:11]
	v_min_i32_e32 v11, 31, v22
	v_cmp_eq_u32_e32 vcc, 0, v22
	v_lshlrev_b32_e32 v11, 2, v11
	v_and_or_b32 v10, v10, 3, v11
	s_and_b64 s[16:17], vcc, s[16:17]
	v_cndmask_b32_e64 v10, v10, 0, s[16:17]
	v_or_b32_e32 v32, v10, v3
.LBB2_935:                              ;   in Loop: Header=BB2_707 Depth=2
	s_or_b64 exec, exec, s[50:51]
.LBB2_936:                              ;   in Loop: Header=BB2_707 Depth=2
	s_or_b64 exec, exec, s[48:49]
                                        ; implicit-def: $vgpr10
.LBB2_937:                              ;   in Loop: Header=BB2_707 Depth=2
	s_andn2_saveexec_b64 s[16:17], s[46:47]
; %bb.938:                              ;   in Loop: Header=BB2_707 Depth=2
	v_or_b32_sdwa v3, v10, s68 dst_sel:DWORD dst_unused:UNUSED_PAD src0_sel:BYTE_3 src1_sel:DWORD
	v_cmp_eq_u64_e32 vcc, 0, v[54:55]
	v_cndmask_b32_e32 v32, v3, v32, vcc
; %bb.939:                              ;   in Loop: Header=BB2_707 Depth=2
	s_or_b64 exec, exec, s[16:17]
	v_lshrrev_b32_e32 v10, 16, v2
	v_cmp_ne_u16_sdwa vcc, v10, v55 src0_sel:BYTE_0 src1_sel:DWORD
	v_mov_b32_e32 v3, 0
	v_mov_b32_e32 v11, 0
	s_and_saveexec_b64 s[16:17], vcc
	s_cbranch_execz .LBB2_947
; %bb.940:                              ;   in Loop: Header=BB2_707 Depth=2
	v_cmp_ne_u16_sdwa vcc, v10, s66 src0_sel:BYTE_0 src1_sel:DWORD
	v_bfrev_b32_e32 v11, 1
	s_and_saveexec_b64 s[46:47], vcc
	s_cbranch_execz .LBB2_946
; %bb.941:                              ;   in Loop: Header=BB2_707 Depth=2
	v_and_b32_e32 v11, 0x7c0000, v2
	v_bfe_u32 v22, v2, 16, 2
	v_cmp_ne_u32_e32 vcc, s69, v11
                                        ; implicit-def: $vgpr11
	s_and_saveexec_b64 s[48:49], vcc
	s_xor_b64 s[48:49], exec, s[48:49]
	s_cbranch_execz .LBB2_943
; %bb.942:                              ;   in Loop: Header=BB2_707 Depth=2
	v_ffbh_u32_e32 v11, v22
	v_min_u32_e32 v37, 32, v11
	v_subrev_u32_e32 v11, 29, v37
	v_bfe_u32 v36, v2, 18, 5
	v_lshlrev_b64 v[10:11], v11, v[10:11]
	v_sub_u32_e32 v11, 30, v37
	v_cmp_eq_u32_e32 vcc, 0, v36
	v_and_b32_e32 v10, 3, v10
	v_cndmask_b32_e32 v11, v36, v11, vcc
	v_cndmask_b32_e32 v10, v22, v10, vcc
	v_lshlrev_b32_e32 v22, 8, v2
	v_lshl_add_u32 v11, v11, 23, v7
	v_and_or_b32 v11, v22, s65, v11
	v_lshl_or_b32 v11, v10, 21, v11
                                        ; implicit-def: $vgpr22
                                        ; implicit-def: $vgpr10
.LBB2_943:                              ;   in Loop: Header=BB2_707 Depth=2
	s_andn2_saveexec_b64 s[48:49], s[48:49]
; %bb.944:                              ;   in Loop: Header=BB2_707 Depth=2
	v_cmp_gt_i16_sdwa vcc, sext(v10), v47 src0_sel:BYTE_0 src1_sel:DWORD
	v_cndmask_b32_e32 v10, v24, v25, vcc
	v_cmp_eq_u32_e32 vcc, 0, v22
	v_cndmask_b32_e32 v11, v6, v10, vcc
; %bb.945:                              ;   in Loop: Header=BB2_707 Depth=2
	s_or_b64 exec, exec, s[48:49]
.LBB2_946:                              ;   in Loop: Header=BB2_707 Depth=2
	s_or_b64 exec, exec, s[46:47]
.LBB2_947:                              ;   in Loop: Header=BB2_707 Depth=2
	s_or_b64 exec, exec, s[16:17]
	v_cmp_ne_u16_sdwa vcc, v28, v55 src0_sel:BYTE_0 src1_sel:DWORD
	s_and_saveexec_b64 s[16:17], vcc
	s_cbranch_execz .LBB2_955
; %bb.948:                              ;   in Loop: Header=BB2_707 Depth=2
	v_cmp_ne_u16_sdwa vcc, sext(v28), s63 src0_sel:BYTE_0 src1_sel:DWORD
	v_bfrev_b32_e32 v3, 1
	s_and_saveexec_b64 s[46:47], vcc
	s_cbranch_execz .LBB2_954
; %bb.949:                              ;   in Loop: Header=BB2_707 Depth=2
	v_and_b32_e32 v3, 0x7c, v28
	v_and_b32_e32 v10, 3, v28
	v_cmp_ne_u32_e32 vcc, s64, v3
                                        ; implicit-def: $vgpr3
	s_and_saveexec_b64 s[48:49], vcc
	s_xor_b64 s[48:49], exec, s[48:49]
	s_cbranch_execz .LBB2_951
; %bb.950:                              ;   in Loop: Header=BB2_707 Depth=2
	v_ffbh_u32_e32 v22, v10
	v_bfe_u32 v3, v28, 2, 5
	v_min_u32_e32 v22, 32, v22
	v_subrev_u32_e32 v36, 29, v22
	v_sub_u32_e32 v22, 30, v22
	v_cmp_eq_u32_e32 vcc, 0, v3
	v_lshlrev_b64 v[36:37], v36, v[28:29]
	v_cndmask_b32_e32 v3, v3, v22, vcc
	v_and_b32_e32 v36, 3, v36
	v_lshlrev_b32_e32 v22, 24, v28
	v_lshl_add_u32 v3, v3, 23, v7
	v_cndmask_b32_e32 v10, v10, v36, vcc
	v_and_or_b32 v3, v22, s65, v3
	v_lshl_or_b32 v3, v10, 21, v3
                                        ; implicit-def: $vgpr10
.LBB2_951:                              ;   in Loop: Header=BB2_707 Depth=2
	s_andn2_saveexec_b64 s[48:49], s[48:49]
; %bb.952:                              ;   in Loop: Header=BB2_707 Depth=2
	v_cmp_gt_i16_sdwa vcc, sext(v28), v47 src0_sel:BYTE_0 src1_sel:DWORD
	v_cndmask_b32_e32 v3, v24, v25, vcc
	v_cmp_eq_u32_e32 vcc, 0, v10
	v_cndmask_b32_e32 v3, v6, v3, vcc
; %bb.953:                              ;   in Loop: Header=BB2_707 Depth=2
	s_or_b64 exec, exec, s[48:49]
.LBB2_954:                              ;   in Loop: Header=BB2_707 Depth=2
	s_or_b64 exec, exec, s[46:47]
.LBB2_955:                              ;   in Loop: Header=BB2_707 Depth=2
	s_or_b64 exec, exec, s[16:17]
	v_add_f32_e32 v10, v11, v3
	v_and_b32_sdwa v3, v10, s66 dst_sel:DWORD dst_unused:UNUSED_PAD src0_sel:BYTE_3 src1_sel:DWORD
	v_and_b32_e32 v36, 0x7f800000, v10
	v_mov_b32_e32 v37, v55
	v_and_b32_e32 v54, 0x7fffff, v10
	v_or_b32_e32 v11, 0x7b, v3
	v_cmp_ne_u64_e32 vcc, s[38:39], v[36:37]
	s_and_saveexec_b64 s[16:17], vcc
	s_xor_b64 s[46:47], exec, s[16:17]
	s_cbranch_execz .LBB2_965
; %bb.956:                              ;   in Loop: Header=BB2_707 Depth=2
	v_and_b32_e32 v36, 0x7fffffff, v10
	v_mov_b32_e32 v37, v55
	v_cmp_gt_u64_e32 vcc, s[40:41], v[36:37]
	s_and_saveexec_b64 s[48:49], vcc
	s_cbranch_execz .LBB2_964
; %bb.957:                              ;   in Loop: Header=BB2_707 Depth=2
	v_cmp_ne_u32_e32 vcc, 0, v10
	v_mov_b32_e32 v11, 0
	s_and_saveexec_b64 s[50:51], vcc
	s_cbranch_execz .LBB2_963
; %bb.958:                              ;   in Loop: Header=BB2_707 Depth=2
	v_bfe_u32 v10, v10, 23, 8
	v_sub_u32_e32 v22, 0x71, v10
	v_cmp_gt_u32_e32 vcc, s67, v10
	v_cndmask_b32_e32 v22, 0, v22, vcc
	v_cmp_eq_u32_e32 vcc, 0, v10
	v_or_b32_e32 v36, 0x800000, v54
	v_cndmask_b32_e32 v22, v22, v49, vcc
	v_add_u32_e32 v11, 0xffffff81, v10
	v_cndmask_b32_e32 v54, v36, v54, vcc
	v_add_u32_e32 v10, 21, v22
	v_cndmask_b32_e32 v37, v11, v48, vcc
	v_lshlrev_b64 v[10:11], v10, -1
	v_add_u32_e32 v36, 20, v22
	v_lshrrev_b64 v[60:61], v22, v[54:55]
	v_not_b32_e32 v11, v11
	v_not_b32_e32 v10, v10
	v_lshlrev_b64 v[40:41], v36, 1
	v_lshrrev_b32_e32 v36, 23, v60
	v_and_b32_e32 v11, 0, v11
	v_and_b32_e32 v10, v54, v10
	v_add3_u32 v37, v22, v37, v36
	v_bfe_u32 v22, v60, 21, 1
	v_add_u32_e32 v22, -1, v22
	v_cmp_eq_u64_e32 vcc, v[10:11], v[40:41]
	v_cndmask_b32_e32 v10, 0, v22, vcc
	v_add_u32_e32 v10, v10, v60
	v_and_b32_e32 v10, 0x1fffff, v10
	v_add_co_u32_e32 v10, vcc, v10, v60
	v_add_u32_e32 v36, 14, v37
	v_addc_co_u32_e32 v11, vcc, 0, v61, vcc
	v_cmp_ne_u32_e32 vcc, 0, v36
                                        ; implicit-def: $vgpr22
	s_and_saveexec_b64 s[16:17], vcc
	s_xor_b64 s[16:17], exec, s[16:17]
; %bb.959:                              ;   in Loop: Header=BB2_707 Depth=2
	v_add_u32_e32 v22, 15, v37
	v_cmp_lt_u64_e32 vcc, s[42:43], v[10:11]
	v_cndmask_b32_e32 v22, v36, v22, vcc
	v_cndmask_b32_e64 v36, 0, 1, vcc
	v_lshrrev_b64 v[10:11], v36, v[10:11]
; %bb.960:                              ;   in Loop: Header=BB2_707 Depth=2
	s_andn2_saveexec_b64 s[16:17], s[16:17]
; %bb.961:                              ;   in Loop: Header=BB2_707 Depth=2
	v_bfe_u32 v22, v10, 23, 1
; %bb.962:                              ;   in Loop: Header=BB2_707 Depth=2
	s_or_b64 exec, exec, s[16:17]
	v_lshrrev_b64 v[10:11], 21, v[10:11]
	v_cmp_gt_i32_e32 vcc, 32, v22
	v_cndmask_b32_e32 v11, 0, v11, vcc
	v_cndmask_b32_e32 v10, 3, v10, vcc
	v_cmp_eq_u64_e64 s[16:17], 0, v[10:11]
	v_min_i32_e32 v11, 31, v22
	v_cmp_eq_u32_e32 vcc, 0, v22
	v_lshlrev_b32_e32 v11, 2, v11
	v_and_or_b32 v10, v10, 3, v11
	s_and_b64 s[16:17], vcc, s[16:17]
	v_cndmask_b32_e64 v10, v10, 0, s[16:17]
	v_or_b32_e32 v11, v10, v3
.LBB2_963:                              ;   in Loop: Header=BB2_707 Depth=2
	s_or_b64 exec, exec, s[50:51]
.LBB2_964:                              ;   in Loop: Header=BB2_707 Depth=2
	s_or_b64 exec, exec, s[48:49]
                                        ; implicit-def: $vgpr10
.LBB2_965:                              ;   in Loop: Header=BB2_707 Depth=2
	s_andn2_saveexec_b64 s[16:17], s[46:47]
; %bb.966:                              ;   in Loop: Header=BB2_707 Depth=2
	v_or_b32_sdwa v3, v10, s68 dst_sel:DWORD dst_unused:UNUSED_PAD src0_sel:BYTE_3 src1_sel:DWORD
	v_cmp_eq_u64_e32 vcc, 0, v[54:55]
	v_cndmask_b32_e32 v11, v3, v11, vcc
; %bb.967:                              ;   in Loop: Header=BB2_707 Depth=2
	s_or_b64 exec, exec, s[16:17]
	v_cmp_lt_u32_e32 vcc, s37, v2
	v_mov_b32_e32 v22, 0
	v_mov_b32_e32 v3, 0
	s_and_saveexec_b64 s[16:17], vcc
	s_cbranch_execz .LBB2_975
; %bb.968:                              ;   in Loop: Header=BB2_707 Depth=2
	v_lshrrev_b32_e32 v10, 24, v2
	v_cmp_ne_u32_e32 vcc, s66, v10
	v_bfrev_b32_e32 v3, 1
	s_and_saveexec_b64 s[46:47], vcc
	s_cbranch_execz .LBB2_974
; %bb.969:                              ;   in Loop: Header=BB2_707 Depth=2
	v_and_b32_e32 v3, 0x7c000000, v2
	v_bfe_u32 v36, v2, 24, 2
	v_cmp_ne_u32_e32 vcc, s70, v3
                                        ; implicit-def: $vgpr3
	s_and_saveexec_b64 s[48:49], vcc
	s_xor_b64 s[48:49], exec, s[48:49]
	s_cbranch_execz .LBB2_971
; %bb.970:                              ;   in Loop: Header=BB2_707 Depth=2
	v_ffbh_u32_e32 v37, v36
	v_min_u32_e32 v37, 32, v37
	v_bfe_u32 v3, v2, 26, 5
	v_subrev_u32_e32 v38, 29, v37
	v_lshlrev_b64 v[40:41], v38, v[10:11]
	v_sub_u32_e32 v10, 30, v37
	v_cmp_eq_u32_e32 vcc, 0, v3
	v_cndmask_b32_e32 v3, v3, v10, vcc
	v_and_b32_e32 v37, 3, v40
	v_lshl_add_u32 v3, v3, 23, v7
	v_cndmask_b32_e32 v10, v36, v37, vcc
	v_and_or_b32 v2, v2, s65, v3
	v_lshl_or_b32 v3, v10, 21, v2
                                        ; implicit-def: $vgpr36
.LBB2_971:                              ;   in Loop: Header=BB2_707 Depth=2
	s_andn2_saveexec_b64 s[48:49], s[48:49]
; %bb.972:                              ;   in Loop: Header=BB2_707 Depth=2
	v_cmp_lt_i32_e32 vcc, -1, v2
	v_cndmask_b32_e32 v2, v24, v25, vcc
	v_cmp_eq_u32_e32 vcc, 0, v36
	v_cndmask_b32_e32 v3, v6, v2, vcc
; %bb.973:                              ;   in Loop: Header=BB2_707 Depth=2
	s_or_b64 exec, exec, s[48:49]
.LBB2_974:                              ;   in Loop: Header=BB2_707 Depth=2
	s_or_b64 exec, exec, s[46:47]
.LBB2_975:                              ;   in Loop: Header=BB2_707 Depth=2
	s_or_b64 exec, exec, s[16:17]
	v_lshlrev_b32_e32 v36, 8, v31
	v_and_b32_e32 v37, 0xff00, v36
	v_cmp_ne_u32_e32 vcc, 0, v37
	s_and_saveexec_b64 s[16:17], vcc
	s_cbranch_execz .LBB2_983
; %bb.976:                              ;   in Loop: Header=BB2_707 Depth=2
	v_cmp_ne_u32_e32 vcc, s74, v37
	v_bfrev_b32_e32 v22, 1
	s_and_saveexec_b64 s[46:47], vcc
	s_cbranch_execz .LBB2_982
; %bb.977:                              ;   in Loop: Header=BB2_707 Depth=2
	v_and_or_b32 v10, v28, s62, v37
	v_and_b32_e32 v22, 0x7c, v31
	v_bfe_u32 v2, v37, 8, 2
	v_lshlrev_b32_e32 v10, 16, v10
	v_cmp_ne_u32_e32 vcc, s64, v22
                                        ; implicit-def: $vgpr22
	s_and_saveexec_b64 s[48:49], vcc
	s_xor_b64 s[48:49], exec, s[48:49]
	s_cbranch_execz .LBB2_979
; %bb.978:                              ;   in Loop: Header=BB2_707 Depth=2
	v_ffbh_u32_e32 v31, v2
	v_min_u32_e32 v31, 32, v31
	v_lshrrev_b32_e32 v22, 8, v37
	v_bfe_u32 v28, v36, 10, 5
	v_subrev_u32_e32 v36, 29, v31
	v_lshlrev_b64 v[36:37], v36, v[22:23]
	v_sub_u32_e32 v22, 30, v31
	v_cmp_eq_u32_e32 vcc, 0, v28
	v_cndmask_b32_e32 v22, v28, v22, vcc
	v_and_b32_e32 v31, 3, v36
	v_lshl_add_u32 v22, v22, 23, v7
	v_cndmask_b32_e32 v2, v2, v31, vcc
	v_and_or_b32 v10, v10, s65, v22
	v_lshl_or_b32 v22, v2, 21, v10
                                        ; implicit-def: $vgpr2
                                        ; implicit-def: $vgpr10
.LBB2_979:                              ;   in Loop: Header=BB2_707 Depth=2
	s_andn2_saveexec_b64 s[48:49], s[48:49]
; %bb.980:                              ;   in Loop: Header=BB2_707 Depth=2
	v_cmp_lt_i32_e32 vcc, -1, v10
	v_cndmask_b32_e32 v10, v24, v25, vcc
	v_cmp_eq_u32_e32 vcc, 0, v2
	v_cndmask_b32_e32 v22, v6, v10, vcc
; %bb.981:                              ;   in Loop: Header=BB2_707 Depth=2
	s_or_b64 exec, exec, s[48:49]
.LBB2_982:                              ;   in Loop: Header=BB2_707 Depth=2
	s_or_b64 exec, exec, s[46:47]
.LBB2_983:                              ;   in Loop: Header=BB2_707 Depth=2
	s_or_b64 exec, exec, s[16:17]
	v_add_f32_e32 v2, v3, v22
	v_and_b32_sdwa v10, v2, s66 dst_sel:DWORD dst_unused:UNUSED_PAD src0_sel:BYTE_3 src1_sel:DWORD
	v_and_b32_e32 v36, 0x7f800000, v2
	v_mov_b32_e32 v37, v55
	v_and_b32_e32 v54, 0x7fffff, v2
	v_or_b32_e32 v22, 0x7b, v10
	v_cmp_ne_u64_e32 vcc, s[38:39], v[36:37]
	s_and_saveexec_b64 s[16:17], vcc
	s_xor_b64 s[46:47], exec, s[16:17]
	s_cbranch_execz .LBB2_993
; %bb.984:                              ;   in Loop: Header=BB2_707 Depth=2
	v_and_b32_e32 v36, 0x7fffffff, v2
	v_mov_b32_e32 v37, v55
	v_cmp_gt_u64_e32 vcc, s[40:41], v[36:37]
	s_and_saveexec_b64 s[48:49], vcc
	s_cbranch_execz .LBB2_992
; %bb.985:                              ;   in Loop: Header=BB2_707 Depth=2
	v_cmp_ne_u32_e32 vcc, 0, v2
	v_mov_b32_e32 v22, 0
	s_and_saveexec_b64 s[50:51], vcc
	s_cbranch_execz .LBB2_991
; %bb.986:                              ;   in Loop: Header=BB2_707 Depth=2
	v_bfe_u32 v2, v2, 23, 8
	v_sub_u32_e32 v22, 0x71, v2
	v_cmp_gt_u32_e32 vcc, s67, v2
	v_cndmask_b32_e32 v22, 0, v22, vcc
	v_cmp_eq_u32_e32 vcc, 0, v2
	v_or_b32_e32 v28, 0x800000, v54
	v_cndmask_b32_e32 v22, v22, v49, vcc
	v_add_u32_e32 v3, 0xffffff81, v2
	v_cndmask_b32_e32 v54, v28, v54, vcc
	v_add_u32_e32 v2, 21, v22
	v_cndmask_b32_e32 v31, v3, v48, vcc
	v_lshlrev_b64 v[2:3], v2, -1
	v_add_u32_e32 v28, 20, v22
	v_lshrrev_b64 v[40:41], v22, v[54:55]
	v_not_b32_e32 v3, v3
	v_not_b32_e32 v2, v2
	v_lshlrev_b64 v[36:37], v28, 1
	v_lshrrev_b32_e32 v28, 23, v40
	v_and_b32_e32 v3, 0, v3
	v_and_b32_e32 v2, v54, v2
	v_add3_u32 v31, v22, v31, v28
	v_bfe_u32 v22, v40, 21, 1
	v_add_u32_e32 v22, -1, v22
	v_cmp_eq_u64_e32 vcc, v[2:3], v[36:37]
	v_cndmask_b32_e32 v2, 0, v22, vcc
	v_add_u32_e32 v2, v2, v40
	v_and_b32_e32 v2, 0x1fffff, v2
	v_add_co_u32_e32 v2, vcc, v2, v40
	v_add_u32_e32 v28, 14, v31
	v_addc_co_u32_e32 v3, vcc, 0, v41, vcc
	v_cmp_ne_u32_e32 vcc, 0, v28
                                        ; implicit-def: $vgpr22
	s_and_saveexec_b64 s[16:17], vcc
	s_xor_b64 s[16:17], exec, s[16:17]
; %bb.987:                              ;   in Loop: Header=BB2_707 Depth=2
	v_add_u32_e32 v22, 15, v31
	v_cmp_lt_u64_e32 vcc, s[42:43], v[2:3]
	v_cndmask_b32_e32 v22, v28, v22, vcc
	v_cndmask_b32_e64 v28, 0, 1, vcc
	v_lshrrev_b64 v[2:3], v28, v[2:3]
; %bb.988:                              ;   in Loop: Header=BB2_707 Depth=2
	s_andn2_saveexec_b64 s[16:17], s[16:17]
; %bb.989:                              ;   in Loop: Header=BB2_707 Depth=2
	v_bfe_u32 v22, v2, 23, 1
; %bb.990:                              ;   in Loop: Header=BB2_707 Depth=2
	s_or_b64 exec, exec, s[16:17]
	v_lshrrev_b64 v[2:3], 21, v[2:3]
	v_cmp_gt_i32_e32 vcc, 32, v22
	v_cndmask_b32_e32 v3, 0, v3, vcc
	v_cndmask_b32_e32 v2, 3, v2, vcc
	v_cmp_eq_u64_e64 s[16:17], 0, v[2:3]
	v_min_i32_e32 v3, 31, v22
	v_cmp_eq_u32_e32 vcc, 0, v22
	v_lshlrev_b32_e32 v3, 2, v3
	v_and_or_b32 v2, v2, 3, v3
	s_and_b64 s[16:17], vcc, s[16:17]
	v_cndmask_b32_e64 v2, v2, 0, s[16:17]
	v_or_b32_e32 v22, v2, v10
.LBB2_991:                              ;   in Loop: Header=BB2_707 Depth=2
	s_or_b64 exec, exec, s[50:51]
.LBB2_992:                              ;   in Loop: Header=BB2_707 Depth=2
	s_or_b64 exec, exec, s[48:49]
                                        ; implicit-def: $vgpr2
.LBB2_993:                              ;   in Loop: Header=BB2_707 Depth=2
	s_andn2_saveexec_b64 s[16:17], s[46:47]
; %bb.994:                              ;   in Loop: Header=BB2_707 Depth=2
	v_or_b32_sdwa v2, v2, s68 dst_sel:DWORD dst_unused:UNUSED_PAD src0_sel:BYTE_3 src1_sel:DWORD
	v_cmp_eq_u64_e32 vcc, 0, v[54:55]
	v_cndmask_b32_e32 v22, v2, v22, vcc
; %bb.995:                              ;   in Loop: Header=BB2_707 Depth=2
	s_or_b64 exec, exec, s[16:17]
	v_cmp_ne_u16_sdwa vcc, v4, v55 src0_sel:BYTE_0 src1_sel:DWORD
	v_mov_b32_e32 v3, 0
	v_mov_b32_e32 v2, 0
	s_and_saveexec_b64 s[16:17], vcc
	s_cbranch_execz .LBB2_1003
; %bb.996:                              ;   in Loop: Header=BB2_707 Depth=2
	v_cmp_ne_u16_sdwa vcc, sext(v4), s63 src0_sel:BYTE_0 src1_sel:DWORD
	v_bfrev_b32_e32 v2, 1
	s_and_saveexec_b64 s[46:47], vcc
	s_cbranch_execz .LBB2_1002
; %bb.997:                              ;   in Loop: Header=BB2_707 Depth=2
	v_and_b32_e32 v2, 0x7c, v4
	v_and_b32_e32 v10, 3, v4
	v_cmp_ne_u32_e32 vcc, s64, v2
                                        ; implicit-def: $vgpr2
	s_and_saveexec_b64 s[48:49], vcc
	s_xor_b64 s[48:49], exec, s[48:49]
	s_cbranch_execz .LBB2_999
; %bb.998:                              ;   in Loop: Header=BB2_707 Depth=2
	v_ffbh_u32_e32 v28, v10
	v_min_u32_e32 v28, 32, v28
	v_bfe_u32 v2, v4, 2, 5
	v_subrev_u32_e32 v31, 29, v28
	v_lshlrev_b64 v[36:37], v31, v[4:5]
	v_sub_u32_e32 v5, 30, v28
	v_cmp_eq_u32_e32 vcc, 0, v2
	v_and_b32_e32 v28, 3, v36
	v_cndmask_b32_e32 v2, v2, v5, vcc
	v_cndmask_b32_e32 v5, v10, v28, vcc
	v_lshlrev_b32_e32 v10, 24, v4
	v_lshl_add_u32 v2, v2, 23, v7
	v_and_or_b32 v2, v10, s65, v2
	v_lshl_or_b32 v2, v5, 21, v2
                                        ; implicit-def: $vgpr10
.LBB2_999:                              ;   in Loop: Header=BB2_707 Depth=2
	s_andn2_saveexec_b64 s[48:49], s[48:49]
; %bb.1000:                             ;   in Loop: Header=BB2_707 Depth=2
	v_cmp_gt_i16_sdwa vcc, sext(v4), v47 src0_sel:BYTE_0 src1_sel:DWORD
	v_cndmask_b32_e32 v2, v24, v25, vcc
	v_cmp_eq_u32_e32 vcc, 0, v10
	v_cndmask_b32_e32 v2, v6, v2, vcc
; %bb.1001:                             ;   in Loop: Header=BB2_707 Depth=2
	s_or_b64 exec, exec, s[48:49]
.LBB2_1002:                             ;   in Loop: Header=BB2_707 Depth=2
	s_or_b64 exec, exec, s[46:47]
.LBB2_1003:                             ;   in Loop: Header=BB2_707 Depth=2
	s_or_b64 exec, exec, s[16:17]
	v_lshlrev_b32_e32 v5, 8, v33
	v_lshlrev_b32_e32 v23, 24, v23
	v_perm_b32 v10, v5, v29, s71
	v_lshl_or_b32 v28, v27, 16, v23
	v_cmp_ne_u16_sdwa vcc, v29, v55 src0_sel:BYTE_0 src1_sel:DWORD
	s_and_saveexec_b64 s[16:17], vcc
	s_cbranch_execz .LBB2_1011
; %bb.1004:                             ;   in Loop: Header=BB2_707 Depth=2
	v_cmp_ne_u16_sdwa vcc, sext(v29), s63 src0_sel:BYTE_0 src1_sel:DWORD
	v_bfrev_b32_e32 v3, 1
	s_and_saveexec_b64 s[46:47], vcc
	s_cbranch_execz .LBB2_1010
; %bb.1005:                             ;   in Loop: Header=BB2_707 Depth=2
	v_and_b32_e32 v3, 0x7c, v29
	v_and_b32_e32 v5, 3, v29
	v_cmp_ne_u32_e32 vcc, s64, v3
                                        ; implicit-def: $vgpr3
	s_and_saveexec_b64 s[48:49], vcc
	s_xor_b64 s[48:49], exec, s[48:49]
	s_cbranch_execz .LBB2_1007
; %bb.1006:                             ;   in Loop: Header=BB2_707 Depth=2
	v_ffbh_u32_e32 v31, v5
	v_bfe_u32 v3, v29, 2, 5
	v_min_u32_e32 v31, 32, v31
	v_or_b32_e32 v36, v28, v10
	v_subrev_u32_e32 v33, 29, v31
	v_sub_u32_e32 v31, 30, v31
	v_cmp_eq_u32_e32 vcc, 0, v3
	v_lshlrev_b64 v[36:37], v33, v[36:37]
	v_cndmask_b32_e32 v3, v3, v31, vcc
	v_and_b32_e32 v33, 3, v36
	v_lshlrev_b32_e32 v29, 24, v29
	v_lshl_add_u32 v3, v3, 23, v7
	v_cndmask_b32_e32 v5, v5, v33, vcc
	v_and_or_b32 v3, v29, s65, v3
	v_lshl_or_b32 v3, v5, 21, v3
                                        ; implicit-def: $vgpr5
                                        ; implicit-def: $vgpr29
.LBB2_1007:                             ;   in Loop: Header=BB2_707 Depth=2
	s_andn2_saveexec_b64 s[48:49], s[48:49]
; %bb.1008:                             ;   in Loop: Header=BB2_707 Depth=2
	v_cmp_gt_i16_sdwa vcc, sext(v29), v47 src0_sel:BYTE_0 src1_sel:DWORD
	v_cndmask_b32_e32 v3, v24, v25, vcc
	v_cmp_eq_u32_e32 vcc, 0, v5
	v_cndmask_b32_e32 v3, v6, v3, vcc
; %bb.1009:                             ;   in Loop: Header=BB2_707 Depth=2
	s_or_b64 exec, exec, s[48:49]
.LBB2_1010:                             ;   in Loop: Header=BB2_707 Depth=2
	s_or_b64 exec, exec, s[46:47]
.LBB2_1011:                             ;   in Loop: Header=BB2_707 Depth=2
	s_or_b64 exec, exec, s[16:17]
	v_add_f32_e32 v2, v2, v3
	v_and_b32_sdwa v29, v2, s66 dst_sel:DWORD dst_unused:UNUSED_PAD src0_sel:BYTE_3 src1_sel:DWORD
	v_and_b32_e32 v36, 0x7f800000, v2
	v_mov_b32_e32 v37, v55
	v_and_b32_e32 v54, 0x7fffff, v2
	v_or_b32_e32 v5, 0x7b, v29
	v_cmp_ne_u64_e32 vcc, s[38:39], v[36:37]
	s_and_saveexec_b64 s[16:17], vcc
	s_xor_b64 s[46:47], exec, s[16:17]
	s_cbranch_execz .LBB2_1021
; %bb.1012:                             ;   in Loop: Header=BB2_707 Depth=2
	v_and_b32_e32 v36, 0x7fffffff, v2
	v_mov_b32_e32 v37, v55
	v_cmp_gt_u64_e32 vcc, s[40:41], v[36:37]
	s_and_saveexec_b64 s[48:49], vcc
	s_cbranch_execz .LBB2_1020
; %bb.1013:                             ;   in Loop: Header=BB2_707 Depth=2
	v_cmp_ne_u32_e32 vcc, 0, v2
	v_mov_b32_e32 v5, 0
	s_and_saveexec_b64 s[50:51], vcc
	s_cbranch_execz .LBB2_1019
; %bb.1014:                             ;   in Loop: Header=BB2_707 Depth=2
	v_bfe_u32 v2, v2, 23, 8
	v_sub_u32_e32 v5, 0x71, v2
	v_cmp_gt_u32_e32 vcc, s67, v2
	v_cndmask_b32_e32 v5, 0, v5, vcc
	v_cmp_eq_u32_e32 vcc, 0, v2
	v_or_b32_e32 v31, 0x800000, v54
	v_cndmask_b32_e32 v5, v5, v49, vcc
	v_add_u32_e32 v3, 0xffffff81, v2
	v_cndmask_b32_e32 v54, v31, v54, vcc
	v_add_u32_e32 v2, 21, v5
	v_cndmask_b32_e32 v33, v3, v48, vcc
	v_lshlrev_b64 v[2:3], v2, -1
	v_add_u32_e32 v31, 20, v5
	v_lshrrev_b64 v[40:41], v5, v[54:55]
	v_not_b32_e32 v3, v3
	v_not_b32_e32 v2, v2
	v_lshlrev_b64 v[36:37], v31, 1
	v_lshrrev_b32_e32 v31, 23, v40
	v_and_b32_e32 v3, 0, v3
	v_and_b32_e32 v2, v54, v2
	v_add3_u32 v33, v5, v33, v31
	v_bfe_u32 v5, v40, 21, 1
	v_add_u32_e32 v5, -1, v5
	v_cmp_eq_u64_e32 vcc, v[2:3], v[36:37]
	v_cndmask_b32_e32 v2, 0, v5, vcc
	v_add_u32_e32 v2, v2, v40
	v_and_b32_e32 v2, 0x1fffff, v2
	v_add_co_u32_e32 v2, vcc, v2, v40
	v_add_u32_e32 v31, 14, v33
	v_addc_co_u32_e32 v3, vcc, 0, v41, vcc
	v_cmp_ne_u32_e32 vcc, 0, v31
                                        ; implicit-def: $vgpr5
	s_and_saveexec_b64 s[16:17], vcc
	s_xor_b64 s[16:17], exec, s[16:17]
; %bb.1015:                             ;   in Loop: Header=BB2_707 Depth=2
	v_add_u32_e32 v5, 15, v33
	v_cmp_lt_u64_e32 vcc, s[42:43], v[2:3]
	v_cndmask_b32_e32 v5, v31, v5, vcc
	v_cndmask_b32_e64 v31, 0, 1, vcc
	v_lshrrev_b64 v[2:3], v31, v[2:3]
; %bb.1016:                             ;   in Loop: Header=BB2_707 Depth=2
	s_andn2_saveexec_b64 s[16:17], s[16:17]
; %bb.1017:                             ;   in Loop: Header=BB2_707 Depth=2
	v_bfe_u32 v5, v2, 23, 1
; %bb.1018:                             ;   in Loop: Header=BB2_707 Depth=2
	s_or_b64 exec, exec, s[16:17]
	v_lshrrev_b64 v[2:3], 21, v[2:3]
	v_cmp_gt_i32_e32 vcc, 32, v5
	v_cndmask_b32_e32 v3, 0, v3, vcc
	v_cndmask_b32_e32 v2, 3, v2, vcc
	v_cmp_eq_u64_e64 s[16:17], 0, v[2:3]
	v_min_i32_e32 v3, 31, v5
	v_cmp_eq_u32_e32 vcc, 0, v5
	v_lshlrev_b32_e32 v3, 2, v3
	v_and_or_b32 v2, v2, 3, v3
	s_and_b64 s[16:17], vcc, s[16:17]
	v_cndmask_b32_e64 v2, v2, 0, s[16:17]
	v_or_b32_e32 v5, v2, v29
.LBB2_1019:                             ;   in Loop: Header=BB2_707 Depth=2
	s_or_b64 exec, exec, s[50:51]
.LBB2_1020:                             ;   in Loop: Header=BB2_707 Depth=2
	s_or_b64 exec, exec, s[48:49]
                                        ; implicit-def: $vgpr2
.LBB2_1021:                             ;   in Loop: Header=BB2_707 Depth=2
	s_andn2_saveexec_b64 s[16:17], s[46:47]
; %bb.1022:                             ;   in Loop: Header=BB2_707 Depth=2
	v_or_b32_sdwa v2, v2, s68 dst_sel:DWORD dst_unused:UNUSED_PAD src0_sel:BYTE_3 src1_sel:DWORD
	v_cmp_eq_u64_e32 vcc, 0, v[54:55]
	v_cndmask_b32_e32 v5, v2, v5, vcc
; %bb.1023:                             ;   in Loop: Header=BB2_707 Depth=2
	s_or_b64 exec, exec, s[16:17]
	v_lshrrev_b16_e32 v54, 8, v4
	v_cmp_ne_u16_e32 vcc, 0, v54
	v_mov_b32_e32 v2, 0
	v_mov_b32_e32 v3, 0
	s_and_saveexec_b64 s[16:17], vcc
	s_cbranch_execz .LBB2_1031
; %bb.1024:                             ;   in Loop: Header=BB2_707 Depth=2
	v_cmp_ne_u16_e32 vcc, s66, v54
	v_bfrev_b32_e32 v3, 1
	s_and_saveexec_b64 s[46:47], vcc
	s_cbranch_execz .LBB2_1030
; %bb.1025:                             ;   in Loop: Header=BB2_707 Depth=2
	v_and_b32_e32 v3, 0x7c, v54
	v_and_b32_e32 v29, 3, v54
	v_cmp_ne_u32_e32 vcc, s64, v3
                                        ; implicit-def: $vgpr3
	s_and_saveexec_b64 s[48:49], vcc
	s_xor_b64 s[48:49], exec, s[48:49]
	s_cbranch_execz .LBB2_1027
; %bb.1026:                             ;   in Loop: Header=BB2_707 Depth=2
	v_ffbh_u32_e32 v31, v29
	v_bfe_u32 v3, v54, 2, 5
	v_min_u32_e32 v31, 32, v31
	v_subrev_u32_e32 v33, 29, v31
	v_sub_u32_e32 v31, 30, v31
	v_cmp_eq_u32_e32 vcc, 0, v3
	v_lshlrev_b64 v[36:37], v33, v[54:55]
	v_cndmask_b32_e32 v3, v3, v31, vcc
	v_and_b32_e32 v33, 3, v36
	v_lshlrev_b32_e32 v31, 16, v4
	v_lshl_add_u32 v3, v3, 23, v7
	v_cndmask_b32_e32 v29, v29, v33, vcc
	v_and_or_b32 v3, v31, s65, v3
	v_lshl_or_b32 v3, v29, 21, v3
                                        ; implicit-def: $vgpr29
.LBB2_1027:                             ;   in Loop: Header=BB2_707 Depth=2
	s_andn2_saveexec_b64 s[48:49], s[48:49]
; %bb.1028:                             ;   in Loop: Header=BB2_707 Depth=2
	v_cmp_lt_i16_e32 vcc, -1, v4
	v_cndmask_b32_e32 v3, v24, v25, vcc
	v_cmp_eq_u32_e32 vcc, 0, v29
	v_cndmask_b32_e32 v3, v6, v3, vcc
; %bb.1029:                             ;   in Loop: Header=BB2_707 Depth=2
	s_or_b64 exec, exec, s[48:49]
.LBB2_1030:                             ;   in Loop: Header=BB2_707 Depth=2
	s_or_b64 exec, exec, s[46:47]
.LBB2_1031:                             ;   in Loop: Header=BB2_707 Depth=2
	s_or_b64 exec, exec, s[16:17]
	v_lshrrev_b16_e32 v54, 8, v10
	v_cmp_ne_u16_e32 vcc, 0, v54
	s_and_saveexec_b64 s[16:17], vcc
	s_cbranch_execz .LBB2_1039
; %bb.1032:                             ;   in Loop: Header=BB2_707 Depth=2
	v_cmp_ne_u16_e32 vcc, s66, v54
	v_bfrev_b32_e32 v2, 1
	s_and_saveexec_b64 s[46:47], vcc
	s_cbranch_execz .LBB2_1038
; %bb.1033:                             ;   in Loop: Header=BB2_707 Depth=2
	v_and_b32_e32 v2, 0x7c, v54
	v_and_b32_e32 v29, 3, v54
	v_cmp_ne_u32_e32 vcc, s64, v2
                                        ; implicit-def: $vgpr2
	s_and_saveexec_b64 s[48:49], vcc
	s_xor_b64 s[48:49], exec, s[48:49]
	s_cbranch_execz .LBB2_1035
; %bb.1034:                             ;   in Loop: Header=BB2_707 Depth=2
	v_ffbh_u32_e32 v31, v29
	v_bfe_u32 v2, v54, 2, 5
	v_min_u32_e32 v31, 32, v31
	v_subrev_u32_e32 v33, 29, v31
	v_sub_u32_e32 v31, 30, v31
	v_cmp_eq_u32_e32 vcc, 0, v2
	v_lshlrev_b64 v[36:37], v33, v[54:55]
	v_cndmask_b32_e32 v2, v2, v31, vcc
	v_and_b32_e32 v33, 3, v36
	v_lshlrev_b32_e32 v10, 16, v10
	v_lshl_add_u32 v2, v2, 23, v7
	v_cndmask_b32_e32 v29, v29, v33, vcc
	v_and_or_b32 v2, v10, s65, v2
	v_lshl_or_b32 v2, v29, 21, v2
                                        ; implicit-def: $vgpr29
                                        ; implicit-def: $vgpr10
.LBB2_1035:                             ;   in Loop: Header=BB2_707 Depth=2
	s_andn2_saveexec_b64 s[48:49], s[48:49]
; %bb.1036:                             ;   in Loop: Header=BB2_707 Depth=2
	v_cmp_lt_i16_e32 vcc, -1, v10
	v_cndmask_b32_e32 v2, v24, v25, vcc
	v_cmp_eq_u32_e32 vcc, 0, v29
	v_cndmask_b32_e32 v2, v6, v2, vcc
; %bb.1037:                             ;   in Loop: Header=BB2_707 Depth=2
	s_or_b64 exec, exec, s[48:49]
.LBB2_1038:                             ;   in Loop: Header=BB2_707 Depth=2
	s_or_b64 exec, exec, s[46:47]
.LBB2_1039:                             ;   in Loop: Header=BB2_707 Depth=2
	s_or_b64 exec, exec, s[16:17]
	v_add_f32_e32 v2, v3, v2
	v_and_b32_sdwa v10, v2, s66 dst_sel:DWORD dst_unused:UNUSED_PAD src0_sel:BYTE_3 src1_sel:DWORD
	v_and_b32_e32 v36, 0x7f800000, v2
	v_mov_b32_e32 v37, v55
	v_and_b32_e32 v54, 0x7fffff, v2
	v_or_b32_e32 v29, 0x7b, v10
	v_cmp_ne_u64_e32 vcc, s[38:39], v[36:37]
	s_and_saveexec_b64 s[16:17], vcc
	s_xor_b64 s[46:47], exec, s[16:17]
	s_cbranch_execz .LBB2_1049
; %bb.1040:                             ;   in Loop: Header=BB2_707 Depth=2
	v_and_b32_e32 v36, 0x7fffffff, v2
	v_mov_b32_e32 v37, v55
	v_cmp_gt_u64_e32 vcc, s[40:41], v[36:37]
	s_and_saveexec_b64 s[48:49], vcc
	s_cbranch_execz .LBB2_1048
; %bb.1041:                             ;   in Loop: Header=BB2_707 Depth=2
	v_cmp_ne_u32_e32 vcc, 0, v2
	v_mov_b32_e32 v29, 0
	s_and_saveexec_b64 s[50:51], vcc
	s_cbranch_execz .LBB2_1047
; %bb.1042:                             ;   in Loop: Header=BB2_707 Depth=2
	v_bfe_u32 v2, v2, 23, 8
	v_sub_u32_e32 v29, 0x71, v2
	v_cmp_gt_u32_e32 vcc, s67, v2
	v_cndmask_b32_e32 v29, 0, v29, vcc
	v_cmp_eq_u32_e32 vcc, 0, v2
	v_or_b32_e32 v31, 0x800000, v54
	v_cndmask_b32_e32 v29, v29, v49, vcc
	v_add_u32_e32 v3, 0xffffff81, v2
	v_cndmask_b32_e32 v54, v31, v54, vcc
	v_add_u32_e32 v2, 21, v29
	v_cndmask_b32_e32 v33, v3, v48, vcc
	v_lshlrev_b64 v[2:3], v2, -1
	v_add_u32_e32 v31, 20, v29
	v_lshrrev_b64 v[40:41], v29, v[54:55]
	v_not_b32_e32 v3, v3
	v_not_b32_e32 v2, v2
	v_lshlrev_b64 v[36:37], v31, 1
	v_lshrrev_b32_e32 v31, 23, v40
	v_and_b32_e32 v3, 0, v3
	v_and_b32_e32 v2, v54, v2
	v_add3_u32 v33, v29, v33, v31
	v_bfe_u32 v29, v40, 21, 1
	v_add_u32_e32 v29, -1, v29
	v_cmp_eq_u64_e32 vcc, v[2:3], v[36:37]
	v_cndmask_b32_e32 v2, 0, v29, vcc
	v_add_u32_e32 v2, v2, v40
	v_and_b32_e32 v2, 0x1fffff, v2
	v_add_co_u32_e32 v2, vcc, v2, v40
	v_add_u32_e32 v31, 14, v33
	v_addc_co_u32_e32 v3, vcc, 0, v41, vcc
	v_cmp_ne_u32_e32 vcc, 0, v31
                                        ; implicit-def: $vgpr29
	s_and_saveexec_b64 s[16:17], vcc
	s_xor_b64 s[16:17], exec, s[16:17]
; %bb.1043:                             ;   in Loop: Header=BB2_707 Depth=2
	v_add_u32_e32 v29, 15, v33
	v_cmp_lt_u64_e32 vcc, s[42:43], v[2:3]
	v_cndmask_b32_e32 v29, v31, v29, vcc
	v_cndmask_b32_e64 v31, 0, 1, vcc
	v_lshrrev_b64 v[2:3], v31, v[2:3]
; %bb.1044:                             ;   in Loop: Header=BB2_707 Depth=2
	s_andn2_saveexec_b64 s[16:17], s[16:17]
; %bb.1045:                             ;   in Loop: Header=BB2_707 Depth=2
	v_bfe_u32 v29, v2, 23, 1
; %bb.1046:                             ;   in Loop: Header=BB2_707 Depth=2
	s_or_b64 exec, exec, s[16:17]
	v_lshrrev_b64 v[2:3], 21, v[2:3]
	v_cmp_gt_i32_e32 vcc, 32, v29
	v_cndmask_b32_e32 v3, 0, v3, vcc
	v_cndmask_b32_e32 v2, 3, v2, vcc
	v_cmp_eq_u64_e64 s[16:17], 0, v[2:3]
	v_min_i32_e32 v3, 31, v29
	v_cmp_eq_u32_e32 vcc, 0, v29
	v_lshlrev_b32_e32 v3, 2, v3
	v_and_or_b32 v2, v2, 3, v3
	s_and_b64 s[16:17], vcc, s[16:17]
	v_cndmask_b32_e64 v2, v2, 0, s[16:17]
	v_or_b32_e32 v29, v2, v10
.LBB2_1047:                             ;   in Loop: Header=BB2_707 Depth=2
	s_or_b64 exec, exec, s[50:51]
.LBB2_1048:                             ;   in Loop: Header=BB2_707 Depth=2
	s_or_b64 exec, exec, s[48:49]
                                        ; implicit-def: $vgpr2
.LBB2_1049:                             ;   in Loop: Header=BB2_707 Depth=2
	s_andn2_saveexec_b64 s[16:17], s[46:47]
; %bb.1050:                             ;   in Loop: Header=BB2_707 Depth=2
	v_or_b32_sdwa v2, v2, s68 dst_sel:DWORD dst_unused:UNUSED_PAD src0_sel:BYTE_3 src1_sel:DWORD
	v_cmp_eq_u64_e32 vcc, 0, v[54:55]
	v_cndmask_b32_e32 v29, v2, v29, vcc
; %bb.1051:                             ;   in Loop: Header=BB2_707 Depth=2
	s_or_b64 exec, exec, s[16:17]
	v_lshrrev_b32_e32 v2, 16, v4
	v_cmp_ne_u16_sdwa vcc, v2, v55 src0_sel:BYTE_0 src1_sel:DWORD
	v_mov_b32_e32 v3, 0
	v_mov_b32_e32 v10, 0
	s_and_saveexec_b64 s[16:17], vcc
	s_cbranch_execz .LBB2_1059
; %bb.1052:                             ;   in Loop: Header=BB2_707 Depth=2
	v_cmp_ne_u16_sdwa vcc, v2, s66 src0_sel:BYTE_0 src1_sel:DWORD
	v_bfrev_b32_e32 v10, 1
	s_and_saveexec_b64 s[46:47], vcc
	s_cbranch_execz .LBB2_1058
; %bb.1053:                             ;   in Loop: Header=BB2_707 Depth=2
	v_and_b32_e32 v10, 0x7c0000, v4
	v_bfe_u32 v31, v4, 16, 2
	v_cmp_ne_u32_e32 vcc, s69, v10
                                        ; implicit-def: $vgpr10
	s_and_saveexec_b64 s[48:49], vcc
	s_xor_b64 s[48:49], exec, s[48:49]
	s_cbranch_execz .LBB2_1055
; %bb.1054:                             ;   in Loop: Header=BB2_707 Depth=2
	v_ffbh_u32_e32 v33, v31
	v_min_u32_e32 v33, 32, v33
	v_bfe_u32 v10, v4, 18, 5
	v_subrev_u32_e32 v36, 29, v33
	v_lshlrev_b64 v[36:37], v36, v[2:3]
	v_sub_u32_e32 v2, 30, v33
	v_cmp_eq_u32_e32 vcc, 0, v10
	v_and_b32_e32 v33, 3, v36
	v_cndmask_b32_e32 v2, v10, v2, vcc
	v_cndmask_b32_e32 v10, v31, v33, vcc
	v_lshlrev_b32_e32 v31, 8, v4
	v_lshl_add_u32 v2, v2, 23, v7
	v_and_or_b32 v2, v31, s65, v2
	v_lshl_or_b32 v10, v10, 21, v2
                                        ; implicit-def: $vgpr31
                                        ; implicit-def: $vgpr2
.LBB2_1055:                             ;   in Loop: Header=BB2_707 Depth=2
	s_andn2_saveexec_b64 s[48:49], s[48:49]
; %bb.1056:                             ;   in Loop: Header=BB2_707 Depth=2
	v_cmp_gt_i16_sdwa vcc, sext(v2), v47 src0_sel:BYTE_0 src1_sel:DWORD
	v_cndmask_b32_e32 v2, v24, v25, vcc
	v_cmp_eq_u32_e32 vcc, 0, v31
	v_cndmask_b32_e32 v10, v6, v2, vcc
; %bb.1057:                             ;   in Loop: Header=BB2_707 Depth=2
	s_or_b64 exec, exec, s[48:49]
.LBB2_1058:                             ;   in Loop: Header=BB2_707 Depth=2
	s_or_b64 exec, exec, s[46:47]
.LBB2_1059:                             ;   in Loop: Header=BB2_707 Depth=2
	s_or_b64 exec, exec, s[16:17]
	v_lshrrev_b32_e32 v2, 16, v28
	v_cmp_ne_u16_sdwa vcc, v2, v55 src0_sel:BYTE_0 src1_sel:DWORD
	s_and_saveexec_b64 s[16:17], vcc
	s_cbranch_execz .LBB2_1067
; %bb.1060:                             ;   in Loop: Header=BB2_707 Depth=2
	v_cmp_ne_u16_sdwa vcc, v2, s66 src0_sel:BYTE_0 src1_sel:DWORD
	v_bfrev_b32_e32 v3, 1
	s_and_saveexec_b64 s[46:47], vcc
	s_cbranch_execz .LBB2_1066
; %bb.1061:                             ;   in Loop: Header=BB2_707 Depth=2
	v_and_b32_e32 v3, 0x7c, v27
	v_bfe_u32 v31, v28, 16, 2
	v_cmp_ne_u32_e32 vcc, s64, v3
                                        ; implicit-def: $vgpr3
	s_and_saveexec_b64 s[48:49], vcc
	s_xor_b64 s[48:49], exec, s[48:49]
	s_cbranch_execz .LBB2_1063
; %bb.1062:                             ;   in Loop: Header=BB2_707 Depth=2
	v_ffbh_u32_e32 v3, v31
	v_min_u32_e32 v36, 32, v3
	v_subrev_u32_e32 v3, 29, v36
	v_bfe_u32 v33, v27, 2, 5
	v_lshlrev_b64 v[2:3], v3, v[2:3]
	v_sub_u32_e32 v3, 30, v36
	v_cmp_eq_u32_e32 vcc, 0, v33
	v_cndmask_b32_e32 v3, v33, v3, vcc
	v_and_b32_e32 v2, 3, v2
	v_lshlrev_b32_e32 v27, 24, v27
	v_lshl_add_u32 v3, v3, 23, v7
	v_cndmask_b32_e32 v2, v31, v2, vcc
	v_and_or_b32 v3, v27, s65, v3
	v_lshl_or_b32 v3, v2, 21, v3
                                        ; implicit-def: $vgpr31
                                        ; implicit-def: $vgpr2
.LBB2_1063:                             ;   in Loop: Header=BB2_707 Depth=2
	s_andn2_saveexec_b64 s[48:49], s[48:49]
; %bb.1064:                             ;   in Loop: Header=BB2_707 Depth=2
	v_cmp_gt_i16_sdwa vcc, sext(v2), v47 src0_sel:BYTE_0 src1_sel:DWORD
	v_cndmask_b32_e32 v2, v24, v25, vcc
	v_cmp_eq_u32_e32 vcc, 0, v31
	v_cndmask_b32_e32 v3, v6, v2, vcc
; %bb.1065:                             ;   in Loop: Header=BB2_707 Depth=2
	s_or_b64 exec, exec, s[48:49]
.LBB2_1066:                             ;   in Loop: Header=BB2_707 Depth=2
	s_or_b64 exec, exec, s[46:47]
.LBB2_1067:                             ;   in Loop: Header=BB2_707 Depth=2
	s_or_b64 exec, exec, s[16:17]
	v_add_f32_e32 v2, v10, v3
	v_and_b32_sdwa v10, v2, s66 dst_sel:DWORD dst_unused:UNUSED_PAD src0_sel:BYTE_3 src1_sel:DWORD
	v_and_b32_e32 v36, 0x7f800000, v2
	v_mov_b32_e32 v37, v55
	v_and_b32_e32 v54, 0x7fffff, v2
	v_or_b32_e32 v27, 0x7b, v10
	v_cmp_ne_u64_e32 vcc, s[38:39], v[36:37]
	s_and_saveexec_b64 s[16:17], vcc
	s_xor_b64 s[46:47], exec, s[16:17]
	s_cbranch_execz .LBB2_1077
; %bb.1068:                             ;   in Loop: Header=BB2_707 Depth=2
	v_and_b32_e32 v36, 0x7fffffff, v2
	v_mov_b32_e32 v37, v55
	v_cmp_gt_u64_e32 vcc, s[40:41], v[36:37]
	s_and_saveexec_b64 s[48:49], vcc
	s_cbranch_execz .LBB2_1076
; %bb.1069:                             ;   in Loop: Header=BB2_707 Depth=2
	v_cmp_ne_u32_e32 vcc, 0, v2
	v_mov_b32_e32 v27, 0
	s_and_saveexec_b64 s[50:51], vcc
	s_cbranch_execz .LBB2_1075
; %bb.1070:                             ;   in Loop: Header=BB2_707 Depth=2
	v_bfe_u32 v2, v2, 23, 8
	v_sub_u32_e32 v27, 0x71, v2
	v_cmp_gt_u32_e32 vcc, s67, v2
	v_cndmask_b32_e32 v27, 0, v27, vcc
	v_cmp_eq_u32_e32 vcc, 0, v2
	v_or_b32_e32 v31, 0x800000, v54
	v_cndmask_b32_e32 v27, v27, v49, vcc
	v_add_u32_e32 v3, 0xffffff81, v2
	v_cndmask_b32_e32 v54, v31, v54, vcc
	v_add_u32_e32 v2, 21, v27
	v_cndmask_b32_e32 v33, v3, v48, vcc
	v_lshlrev_b64 v[2:3], v2, -1
	v_add_u32_e32 v31, 20, v27
	v_lshrrev_b64 v[40:41], v27, v[54:55]
	v_not_b32_e32 v3, v3
	v_not_b32_e32 v2, v2
	v_lshlrev_b64 v[36:37], v31, 1
	v_lshrrev_b32_e32 v31, 23, v40
	v_and_b32_e32 v3, 0, v3
	v_and_b32_e32 v2, v54, v2
	v_add3_u32 v33, v27, v33, v31
	v_bfe_u32 v27, v40, 21, 1
	v_add_u32_e32 v27, -1, v27
	v_cmp_eq_u64_e32 vcc, v[2:3], v[36:37]
	v_cndmask_b32_e32 v2, 0, v27, vcc
	v_add_u32_e32 v2, v2, v40
	v_and_b32_e32 v2, 0x1fffff, v2
	v_add_co_u32_e32 v2, vcc, v2, v40
	v_add_u32_e32 v31, 14, v33
	v_addc_co_u32_e32 v3, vcc, 0, v41, vcc
	v_cmp_ne_u32_e32 vcc, 0, v31
                                        ; implicit-def: $vgpr27
	s_and_saveexec_b64 s[16:17], vcc
	s_xor_b64 s[16:17], exec, s[16:17]
; %bb.1071:                             ;   in Loop: Header=BB2_707 Depth=2
	v_add_u32_e32 v27, 15, v33
	v_cmp_lt_u64_e32 vcc, s[42:43], v[2:3]
	v_cndmask_b32_e32 v27, v31, v27, vcc
	v_cndmask_b32_e64 v31, 0, 1, vcc
	v_lshrrev_b64 v[2:3], v31, v[2:3]
; %bb.1072:                             ;   in Loop: Header=BB2_707 Depth=2
	s_andn2_saveexec_b64 s[16:17], s[16:17]
; %bb.1073:                             ;   in Loop: Header=BB2_707 Depth=2
	v_bfe_u32 v27, v2, 23, 1
; %bb.1074:                             ;   in Loop: Header=BB2_707 Depth=2
	s_or_b64 exec, exec, s[16:17]
	v_lshrrev_b64 v[2:3], 21, v[2:3]
	v_cmp_gt_i32_e32 vcc, 32, v27
	v_cndmask_b32_e32 v3, 0, v3, vcc
	v_cndmask_b32_e32 v2, 3, v2, vcc
	v_cmp_eq_u64_e64 s[16:17], 0, v[2:3]
	v_min_i32_e32 v3, 31, v27
	v_lshlrev_b32_e32 v3, 2, v3
	v_cmp_eq_u32_e32 vcc, 0, v27
	v_and_b32_e32 v3, 0xfc, v3
	v_and_or_b32 v2, v2, 3, v3
	s_and_b64 s[16:17], vcc, s[16:17]
	v_cndmask_b32_e64 v2, v2, 0, s[16:17]
	v_or_b32_e32 v27, v2, v10
.LBB2_1075:                             ;   in Loop: Header=BB2_707 Depth=2
	s_or_b64 exec, exec, s[50:51]
.LBB2_1076:                             ;   in Loop: Header=BB2_707 Depth=2
	s_or_b64 exec, exec, s[48:49]
                                        ; implicit-def: $vgpr2
.LBB2_1077:                             ;   in Loop: Header=BB2_707 Depth=2
	s_andn2_saveexec_b64 s[16:17], s[46:47]
; %bb.1078:                             ;   in Loop: Header=BB2_707 Depth=2
	v_or_b32_sdwa v2, v2, s68 dst_sel:DWORD dst_unused:UNUSED_PAD src0_sel:BYTE_3 src1_sel:DWORD
	v_cmp_eq_u64_e32 vcc, 0, v[54:55]
	v_cndmask_b32_e32 v27, v2, v27, vcc
; %bb.1079:                             ;   in Loop: Header=BB2_707 Depth=2
	s_or_b64 exec, exec, s[16:17]
	v_mov_b32_e32 v2, v55
	v_mov_b32_e32 v3, v4
	v_cmp_lt_u64_e32 vcc, s[36:37], v[2:3]
	v_mov_b32_e32 v31, 0
	v_mov_b32_e32 v33, 0
	s_and_saveexec_b64 s[16:17], vcc
	s_cbranch_execz .LBB2_1087
; %bb.1080:                             ;   in Loop: Header=BB2_707 Depth=2
	v_lshrrev_b32_e32 v10, 24, v4
	v_cmp_ne_u32_e32 vcc, s66, v10
	v_bfrev_b32_e32 v33, 1
	s_and_saveexec_b64 s[46:47], vcc
	s_cbranch_execz .LBB2_1086
; %bb.1081:                             ;   in Loop: Header=BB2_707 Depth=2
	v_and_b32_e32 v33, 0x7c000000, v4
	v_bfe_u32 v36, v4, 24, 2
	v_cmp_ne_u32_e32 vcc, s70, v33
                                        ; implicit-def: $vgpr33
	s_and_saveexec_b64 s[48:49], vcc
	s_xor_b64 s[48:49], exec, s[48:49]
	s_cbranch_execz .LBB2_1083
; %bb.1082:                             ;   in Loop: Header=BB2_707 Depth=2
	v_ffbh_u32_e32 v2, v36
	v_min_u32_e32 v37, 32, v2
	v_subrev_u32_e32 v2, 29, v37
	v_bfe_u32 v33, v4, 26, 5
	v_lshlrev_b64 v[2:3], v2, v[10:11]
	v_sub_u32_e32 v3, 30, v37
	v_cmp_eq_u32_e32 vcc, 0, v33
	v_cndmask_b32_e32 v3, v33, v3, vcc
	v_and_b32_e32 v2, 3, v2
	v_lshl_add_u32 v3, v3, 23, v7
	v_cndmask_b32_e32 v2, v36, v2, vcc
	v_and_or_b32 v3, v4, s65, v3
	v_lshl_or_b32 v33, v2, 21, v3
                                        ; implicit-def: $vgpr36
                                        ; implicit-def: $vgpr2_vgpr3
.LBB2_1083:                             ;   in Loop: Header=BB2_707 Depth=2
	s_andn2_saveexec_b64 s[48:49], s[48:49]
; %bb.1084:                             ;   in Loop: Header=BB2_707 Depth=2
	v_cmp_lt_i64_e32 vcc, -1, v[2:3]
	v_cndmask_b32_e32 v2, v24, v25, vcc
	v_cmp_eq_u32_e32 vcc, 0, v36
	v_cndmask_b32_e32 v33, v6, v2, vcc
; %bb.1085:                             ;   in Loop: Header=BB2_707 Depth=2
	s_or_b64 exec, exec, s[48:49]
.LBB2_1086:                             ;   in Loop: Header=BB2_707 Depth=2
	s_or_b64 exec, exec, s[46:47]
.LBB2_1087:                             ;   in Loop: Header=BB2_707 Depth=2
	s_or_b64 exec, exec, s[16:17]
	v_cmp_lt_u32_e32 vcc, s37, v28
	s_and_saveexec_b64 s[16:17], vcc
	s_cbranch_execz .LBB2_1095
; %bb.1088:                             ;   in Loop: Header=BB2_707 Depth=2
	v_lshrrev_b32_e32 v2, 24, v28
	v_cmp_ne_u32_e32 vcc, s66, v2
	v_bfrev_b32_e32 v31, 1
	s_and_saveexec_b64 s[46:47], vcc
	s_cbranch_execz .LBB2_1094
; %bb.1089:                             ;   in Loop: Header=BB2_707 Depth=2
	v_and_b32_e32 v4, 0x7c000000, v28
	v_bfe_u32 v3, v28, 24, 2
	v_cmp_ne_u32_e32 vcc, s70, v4
                                        ; implicit-def: $vgpr31
	s_and_saveexec_b64 s[48:49], vcc
	s_xor_b64 s[48:49], exec, s[48:49]
	s_cbranch_execz .LBB2_1091
; %bb.1090:                             ;   in Loop: Header=BB2_707 Depth=2
	v_ffbh_u32_e32 v10, v3
	v_min_u32_e32 v10, 32, v10
	v_bfe_u32 v4, v28, 26, 5
	v_subrev_u32_e32 v28, 29, v10
	v_lshlrev_b64 v[36:37], v28, v[2:3]
	v_sub_u32_e32 v2, 30, v10
	v_cmp_eq_u32_e32 vcc, 0, v4
	v_cndmask_b32_e32 v2, v4, v2, vcc
	v_and_b32_e32 v10, 3, v36
	v_lshl_add_u32 v2, v2, 23, v7
	v_cndmask_b32_e32 v3, v3, v10, vcc
	v_and_or_b32 v2, v23, s65, v2
	v_lshl_or_b32 v31, v3, 21, v2
                                        ; implicit-def: $vgpr3
                                        ; implicit-def: $vgpr23
.LBB2_1091:                             ;   in Loop: Header=BB2_707 Depth=2
	s_andn2_saveexec_b64 s[48:49], s[48:49]
; %bb.1092:                             ;   in Loop: Header=BB2_707 Depth=2
	v_cmp_lt_i32_e32 vcc, -1, v23
	v_cndmask_b32_e32 v2, v24, v25, vcc
	v_cmp_eq_u32_e32 vcc, 0, v3
	v_cndmask_b32_e32 v31, v6, v2, vcc
; %bb.1093:                             ;   in Loop: Header=BB2_707 Depth=2
	s_or_b64 exec, exec, s[48:49]
.LBB2_1094:                             ;   in Loop: Header=BB2_707 Depth=2
	s_or_b64 exec, exec, s[46:47]
.LBB2_1095:                             ;   in Loop: Header=BB2_707 Depth=2
	s_or_b64 exec, exec, s[16:17]
	v_add_f32_e32 v3, v33, v31
	v_and_b32_sdwa v4, v3, s66 dst_sel:DWORD dst_unused:UNUSED_PAD src0_sel:BYTE_3 src1_sel:DWORD
	v_and_b32_e32 v36, 0x7f800000, v3
	v_mov_b32_e32 v37, v55
	v_and_b32_e32 v54, 0x7fffff, v3
	v_or_b32_e32 v2, 0x7b, v4
	v_cmp_ne_u64_e32 vcc, s[38:39], v[36:37]
	s_and_saveexec_b64 s[16:17], vcc
	s_xor_b64 s[46:47], exec, s[16:17]
	s_cbranch_execz .LBB2_1105
; %bb.1096:                             ;   in Loop: Header=BB2_707 Depth=2
	v_and_b32_e32 v36, 0x7fffffff, v3
	v_mov_b32_e32 v37, v55
	v_cmp_gt_u64_e32 vcc, s[40:41], v[36:37]
	s_and_saveexec_b64 s[48:49], vcc
	s_cbranch_execz .LBB2_1104
; %bb.1097:                             ;   in Loop: Header=BB2_707 Depth=2
	v_cmp_ne_u32_e32 vcc, 0, v3
	v_mov_b32_e32 v2, 0
	s_and_saveexec_b64 s[50:51], vcc
	s_cbranch_execz .LBB2_1103
; %bb.1098:                             ;   in Loop: Header=BB2_707 Depth=2
	v_bfe_u32 v2, v3, 23, 8
	v_sub_u32_e32 v10, 0x71, v2
	v_cmp_gt_u32_e32 vcc, s67, v2
	v_cndmask_b32_e32 v10, 0, v10, vcc
	v_cmp_eq_u32_e32 vcc, 0, v2
	v_or_b32_e32 v23, 0x800000, v54
	v_cndmask_b32_e32 v10, v10, v49, vcc
	v_add_u32_e32 v3, 0xffffff81, v2
	v_cndmask_b32_e32 v54, v23, v54, vcc
	v_add_u32_e32 v2, 21, v10
	v_cndmask_b32_e32 v28, v3, v48, vcc
	v_lshlrev_b64 v[2:3], v2, -1
	v_add_u32_e32 v23, 20, v10
	v_lshrrev_b64 v[40:41], v10, v[54:55]
	v_not_b32_e32 v3, v3
	v_not_b32_e32 v2, v2
	v_lshlrev_b64 v[36:37], v23, 1
	v_lshrrev_b32_e32 v23, 23, v40
	v_and_b32_e32 v3, 0, v3
	v_and_b32_e32 v2, v54, v2
	v_add3_u32 v28, v10, v28, v23
	v_bfe_u32 v10, v40, 21, 1
	v_add_u32_e32 v10, -1, v10
	v_cmp_eq_u64_e32 vcc, v[2:3], v[36:37]
	v_cndmask_b32_e32 v2, 0, v10, vcc
	v_add_u32_e32 v2, v2, v40
	v_and_b32_e32 v2, 0x1fffff, v2
	v_add_co_u32_e32 v2, vcc, v2, v40
	v_add_u32_e32 v23, 14, v28
	v_addc_co_u32_e32 v3, vcc, 0, v41, vcc
	v_cmp_ne_u32_e32 vcc, 0, v23
                                        ; implicit-def: $vgpr10
	s_and_saveexec_b64 s[16:17], vcc
	s_xor_b64 s[16:17], exec, s[16:17]
; %bb.1099:                             ;   in Loop: Header=BB2_707 Depth=2
	v_add_u32_e32 v10, 15, v28
	v_cmp_lt_u64_e32 vcc, s[42:43], v[2:3]
	v_cndmask_b32_e32 v10, v23, v10, vcc
	v_cndmask_b32_e64 v23, 0, 1, vcc
	v_lshrrev_b64 v[2:3], v23, v[2:3]
; %bb.1100:                             ;   in Loop: Header=BB2_707 Depth=2
	s_andn2_saveexec_b64 s[16:17], s[16:17]
; %bb.1101:                             ;   in Loop: Header=BB2_707 Depth=2
	v_bfe_u32 v10, v2, 23, 1
; %bb.1102:                             ;   in Loop: Header=BB2_707 Depth=2
	s_or_b64 exec, exec, s[16:17]
	v_lshrrev_b64 v[2:3], 21, v[2:3]
	v_cmp_gt_i32_e32 vcc, 32, v10
	v_cndmask_b32_e32 v3, 0, v3, vcc
	v_cndmask_b32_e32 v2, 3, v2, vcc
	v_cmp_eq_u64_e64 s[16:17], 0, v[2:3]
	v_min_i32_e32 v3, 31, v10
	v_lshlrev_b32_e32 v3, 2, v3
	v_cmp_eq_u32_e32 vcc, 0, v10
	v_and_b32_e32 v3, 0xfc, v3
	v_and_or_b32 v2, v2, 3, v3
	s_and_b64 s[16:17], vcc, s[16:17]
	v_cndmask_b32_e64 v2, v2, 0, s[16:17]
	v_or_b32_e32 v2, v2, v4
.LBB2_1103:                             ;   in Loop: Header=BB2_707 Depth=2
	s_or_b64 exec, exec, s[50:51]
.LBB2_1104:                             ;   in Loop: Header=BB2_707 Depth=2
	s_or_b64 exec, exec, s[48:49]
                                        ; implicit-def: $vgpr3
.LBB2_1105:                             ;   in Loop: Header=BB2_707 Depth=2
	s_andn2_saveexec_b64 s[16:17], s[46:47]
; %bb.1106:                             ;   in Loop: Header=BB2_707 Depth=2
	v_or_b32_sdwa v3, v3, s68 dst_sel:DWORD dst_unused:UNUSED_PAD src0_sel:BYTE_3 src1_sel:DWORD
	v_cmp_eq_u64_e32 vcc, 0, v[54:55]
	v_cndmask_b32_e32 v2, v3, v2, vcc
; %bb.1107:                             ;   in Loop: Header=BB2_707 Depth=2
	s_or_b64 exec, exec, s[16:17]
	v_lshlrev_b32_e32 v3, 8, v29
	v_lshlrev_b32_e32 v2, 24, v2
	;; [unrolled: 1-line block ×3, first 2 shown]
	v_perm_b32 v3, v3, v5, s71
	v_cmp_lt_u32_e32 vcc, 7, v46
	v_or3_b32 v3, v2, v3, v4
	v_cndmask_b32_e64 v2, 0, 1, vcc
	;;#ASMSTART
	;;#ASMEND
	v_cmp_ne_u32_e64 s[16:17], 0, v2
	s_cmp_lg_u64 s[16:17], exec
	s_mov_b64 s[16:17], -1
	s_cbranch_scc0 .LBB2_1117
; %bb.1108:                             ;   in Loop: Header=BB2_707 Depth=2
	v_cmp_ne_u32_e64 s[16:17], 1, v46
	flat_store_byte v[0:1], v21
	s_and_saveexec_b64 s[46:47], s[16:17]
	s_cbranch_execnz .LBB2_1119
; %bb.1109:                             ;   in Loop: Header=BB2_707 Depth=2
	s_or_b64 exec, exec, s[46:47]
	v_cmp_lt_u32_e64 s[16:17], 2, v46
	s_and_saveexec_b64 s[46:47], s[16:17]
	s_cbranch_execnz .LBB2_1120
.LBB2_1110:                             ;   in Loop: Header=BB2_707 Depth=2
	s_or_b64 exec, exec, s[46:47]
	v_cmp_lt_u32_e64 s[16:17], 3, v46
	s_and_saveexec_b64 s[46:47], s[16:17]
	s_cbranch_execnz .LBB2_1121
.LBB2_1111:                             ;   in Loop: Header=BB2_707 Depth=2
	s_or_b64 exec, exec, s[46:47]
	v_cmp_lt_u32_e64 s[16:17], 4, v46
	s_and_saveexec_b64 s[46:47], s[16:17]
	s_cbranch_execnz .LBB2_1122
.LBB2_1112:                             ;   in Loop: Header=BB2_707 Depth=2
	s_or_b64 exec, exec, s[46:47]
	v_cmp_lt_u32_e64 s[16:17], 5, v46
	s_and_saveexec_b64 s[46:47], s[16:17]
	s_cbranch_execnz .LBB2_1123
.LBB2_1113:                             ;   in Loop: Header=BB2_707 Depth=2
	s_or_b64 exec, exec, s[46:47]
	v_cmp_lt_u32_e64 s[16:17], 6, v46
	s_and_saveexec_b64 s[46:47], s[16:17]
	s_cbranch_execnz .LBB2_1124
.LBB2_1114:                             ;   in Loop: Header=BB2_707 Depth=2
	s_or_b64 exec, exec, s[46:47]
	s_and_saveexec_b64 s[16:17], vcc
	s_cbranch_execz .LBB2_1116
.LBB2_1115:                             ;   in Loop: Header=BB2_707 Depth=2
	v_lshrrev_b32_e32 v2, 24, v3
	flat_store_byte v[0:1], v2 offset:7
.LBB2_1116:                             ;   in Loop: Header=BB2_707 Depth=2
	s_or_b64 exec, exec, s[16:17]
	s_mov_b64 s[16:17], 0
.LBB2_1117:                             ;   in Loop: Header=BB2_707 Depth=2
	s_and_b64 vcc, exec, s[16:17]
	s_cbranch_vccz .LBB2_706
; %bb.1118:                             ;   in Loop: Header=BB2_707 Depth=2
	v_perm_b32 v4, v22, v11, s72
	v_lshlrev_b32_e32 v2, 8, v32
	v_perm_b32 v4, v4, v21, s75
	v_and_or_b32 v2, v2, s73, v4
	global_store_dwordx2 v[0:1], v[2:3], off
	s_branch .LBB2_706
.LBB2_1119:                             ;   in Loop: Header=BB2_707 Depth=2
	flat_store_byte v[0:1], v32 offset:1
	s_or_b64 exec, exec, s[46:47]
	v_cmp_lt_u32_e64 s[16:17], 2, v46
	s_and_saveexec_b64 s[46:47], s[16:17]
	s_cbranch_execz .LBB2_1110
.LBB2_1120:                             ;   in Loop: Header=BB2_707 Depth=2
	flat_store_byte v[0:1], v11 offset:2
	s_or_b64 exec, exec, s[46:47]
	v_cmp_lt_u32_e64 s[16:17], 3, v46
	s_and_saveexec_b64 s[46:47], s[16:17]
	s_cbranch_execz .LBB2_1111
.LBB2_1121:                             ;   in Loop: Header=BB2_707 Depth=2
	flat_store_byte v[0:1], v22 offset:3
	s_or_b64 exec, exec, s[46:47]
	v_cmp_lt_u32_e64 s[16:17], 4, v46
	s_and_saveexec_b64 s[46:47], s[16:17]
	s_cbranch_execz .LBB2_1112
.LBB2_1122:                             ;   in Loop: Header=BB2_707 Depth=2
	flat_store_byte v[0:1], v5 offset:4
	s_or_b64 exec, exec, s[46:47]
	v_cmp_lt_u32_e64 s[16:17], 5, v46
	s_and_saveexec_b64 s[46:47], s[16:17]
	s_cbranch_execz .LBB2_1113
.LBB2_1123:                             ;   in Loop: Header=BB2_707 Depth=2
	flat_store_byte v[0:1], v29 offset:5
	s_or_b64 exec, exec, s[46:47]
	v_cmp_lt_u32_e64 s[16:17], 6, v46
	s_and_saveexec_b64 s[46:47], s[16:17]
	s_cbranch_execz .LBB2_1114
.LBB2_1124:                             ;   in Loop: Header=BB2_707 Depth=2
	flat_store_byte v[0:1], v27 offset:6
	s_or_b64 exec, exec, s[46:47]
	s_and_saveexec_b64 s[16:17], vcc
	s_cbranch_execnz .LBB2_1115
	s_branch .LBB2_1116
.LBB2_1125:                             ;   in Loop: Header=BB2_29 Depth=1
	s_or_b64 exec, exec, s[44:45]
	v_accvgpr_read_b32 v51, a11
	v_accvgpr_read_b32 v8, a30
	;; [unrolled: 1-line block ×6, first 2 shown]
.LBB2_1126:                             ;   in Loop: Header=BB2_29 Depth=1
	s_or_b64 exec, exec, s[18:19]
	v_accvgpr_read_b32 v4, a4
	v_accvgpr_read_b32 v5, a5
	s_and_saveexec_b64 s[16:17], s[10:11]
	s_cbranch_execz .LBB2_1145
; %bb.1127:                             ;   in Loop: Header=BB2_29 Depth=1
	s_and_saveexec_b64 s[18:19], s[28:29]
	s_xor_b64 s[18:19], exec, s[18:19]
	s_cbranch_execz .LBB2_1142
; %bb.1128:                             ;   in Loop: Header=BB2_29 Depth=1
	s_and_saveexec_b64 s[44:45], s[12:13]
	s_cbranch_execz .LBB2_1141
; %bb.1129:                             ;   in Loop: Header=BB2_29 Depth=1
	s_mov_b64 s[48:49], exec
	v_mbcnt_lo_u32_b32 v0, s48, 0
	v_mbcnt_hi_u32_b32 v0, s49, v0
	v_cmp_eq_u32_e32 vcc, 0, v0
	s_waitcnt vmcnt(0) lgkmcnt(0)
	buffer_wbinvl1_vol
	s_and_saveexec_b64 s[46:47], vcc
	s_cbranch_execz .LBB2_1131
; %bb.1130:                             ;   in Loop: Header=BB2_29 Depth=1
	s_bcnt1_i32_b64 vcc_lo, s[48:49]
	v_mov_b32_e32 v54, vcc_lo
	ds_add_u64 v0, v[54:55]
	s_trap 2
.LBB2_1131:                             ;   in Loop: Header=BB2_29 Depth=1
	s_or_b64 exec, exec, s[46:47]
	s_trap 2
	ds_read_b64 v[0:1], v0
	v_accvgpr_read_b32 v2, a36
	v_add_co_u32_e32 v42, vcc, v42, v2
	v_accvgpr_read_b32 v3, a47
	v_addc_co_u32_e32 v43, vcc, v43, v3, vcc
	s_waitcnt lgkmcnt(0)
	v_cmp_lt_u64_e32 vcc, v[0:1], v[42:43]
	s_and_saveexec_b64 s[46:47], vcc
	s_cbranch_execz .LBB2_1140
; %bb.1132:                             ;   in Loop: Header=BB2_29 Depth=1
	s_mov_b32 s58, 0
	s_mov_b64 s[48:49], 0
                                        ; implicit-def: $sgpr50_sgpr51
                                        ; implicit-def: $sgpr52_sgpr53
	s_branch .LBB2_1134
.LBB2_1133:                             ;   in Loop: Header=BB2_1134 Depth=2
	s_or_b64 exec, exec, s[56:57]
	s_and_b64 vcc, exec, vcc
	s_or_b64 s[48:49], vcc, s[48:49]
	s_andn2_b64 vcc, s[50:51], exec
	s_and_b64 s[50:51], s[52:53], exec
	s_or_b64 s[50:51], vcc, s[50:51]
	s_andn2_b64 exec, exec, s[48:49]
	s_cbranch_execz .LBB2_1138
.LBB2_1134:                             ;   Parent Loop BB2_29 Depth=1
                                        ; =>  This Inner Loop Header: Depth=2
	s_add_i32 s58, s58, 1
	s_cmpk_lg_i32 s58, 0x2710
	s_cselect_b64 s[54:55], -1, 0
	s_and_b64 vcc, exec, s[54:55]
                                        ; implicit-def: $sgpr56_sgpr57
	s_cbranch_vccnz .LBB2_1136
; %bb.1135:                             ;   in Loop: Header=BB2_1134 Depth=2
	s_trap 2
	ds_read_b64 v[0:1], v0
	s_andn2_b64 s[54:55], s[54:55], exec
	s_mov_b32 s58, 0
	s_mov_b64 s[56:57], -1
	s_waitcnt lgkmcnt(0)
	flat_load_dword v0, v[0:1] glc
	s_waitcnt vmcnt(0) lgkmcnt(0)
	buffer_invl2
	buffer_wbinvl1_vol
	v_cmp_eq_u32_e32 vcc, 0, v0
	s_and_b64 vcc, vcc, exec
	s_or_b64 s[54:55], s[54:55], vcc
.LBB2_1136:                             ;   in Loop: Header=BB2_1134 Depth=2
	s_andn2_b64 s[52:53], s[52:53], exec
	s_and_b64 s[56:57], s[56:57], exec
	s_mov_b64 vcc, -1
	s_or_b64 s[52:53], s[52:53], s[56:57]
	s_and_saveexec_b64 s[56:57], s[54:55]
	s_cbranch_execz .LBB2_1133
; %bb.1137:                             ;   in Loop: Header=BB2_1134 Depth=2
	s_sleep 1
	s_trap 2
	ds_read_b64 v[0:1], v0
	s_andn2_b64 s[52:53], s[52:53], exec
	s_waitcnt lgkmcnt(0)
	v_cmp_ge_u64_e32 vcc, v[0:1], v[42:43]
	s_orn2_b64 vcc, vcc, exec
	s_branch .LBB2_1133
.LBB2_1138:                             ;   in Loop: Header=BB2_29 Depth=1
	s_or_b64 exec, exec, s[48:49]
	s_and_saveexec_b64 vcc, s[50:51]
	s_xor_b64 vcc, exec, vcc
	s_cbranch_execz .LBB2_1140
; %bb.1139:                             ;   in Loop: Header=BB2_29 Depth=1
	v_mov_b32_e32 v0, 1
	ds_write_b32 v0, v0
	s_trap 2
.LBB2_1140:                             ;   in Loop: Header=BB2_29 Depth=1
	s_or_b64 exec, exec, s[46:47]
	;;#ASMSTART
	s_wakeup
	;;#ASMEND
.LBB2_1141:                             ;   in Loop: Header=BB2_29 Depth=1
	s_or_b64 exec, exec, s[44:45]
.LBB2_1142:                             ;   in Loop: Header=BB2_29 Depth=1
	s_andn2_saveexec_b64 s[18:19], s[18:19]
	s_cbranch_execz .LBB2_1144
; %bb.1143:                             ;   in Loop: Header=BB2_29 Depth=1
	s_waitcnt vmcnt(0) lgkmcnt(0)
	buffer_wbinvl1_vol
	s_barrier
.LBB2_1144:                             ;   in Loop: Header=BB2_29 Depth=1
	s_or_b64 exec, exec, s[18:19]
.LBB2_1145:                             ;   in Loop: Header=BB2_29 Depth=1
	s_or_b64 exec, exec, s[16:17]
	s_and_saveexec_b64 s[16:17], s[14:15]
	s_cbranch_execz .LBB2_28
; %bb.1146:                             ;   in Loop: Header=BB2_29 Depth=1
	v_accvgpr_read_b32 v0, a26
	v_accvgpr_read_b32 v1, a27
	v_add_co_u32_e32 v0, vcc, 1, v0
	v_addc_co_u32_e32 v1, vcc, 0, v1, vcc
	v_accvgpr_write_b32 a27, v1
	s_waitcnt vmcnt(0) lgkmcnt(0)
	v_accvgpr_read_b32 v2, a28
	v_accvgpr_write_b32 a26, v0
	v_accvgpr_read_b32 v3, a29
	flat_store_dwordx2 v[2:3], v[0:1]
	s_branch .LBB2_28
.LBB2_1147:
	s_or_b64 exec, exec, s[26:27]
	v_accvgpr_read_b32 v23, a15
	v_accvgpr_read_b32 v25, a17
	;; [unrolled: 1-line block ×6, first 2 shown]
.LBB2_1148:
	s_or_b64 exec, exec, s[24:25]
; %bb.1149:
	s_and_saveexec_b64 s[6:7], s[22:23]
	s_cbranch_execnz .LBB2_1152
; %bb.1150:
	s_or_b64 exec, exec, s[6:7]
	s_and_saveexec_b64 s[6:7], s[4:5]
	s_cbranch_execnz .LBB2_1153
.LBB2_1151:
	s_or_b64 exec, exec, s[6:7]
	v_cmp_ne_u32_e32 vcc, 64, v20
	s_and_saveexec_b64 s[4:5], vcc
	s_cbranch_execnz .LBB2_1154
	s_branch .LBB2_1171
.LBB2_1152:
	s_waitcnt vmcnt(0) lgkmcnt(0)
	flat_store_dwordx2 v[24:25], a[26:27] offset:104
	s_or_b64 exec, exec, s[6:7]
	s_and_saveexec_b64 s[6:7], s[4:5]
	s_cbranch_execz .LBB2_1151
.LBB2_1153:
	s_waitcnt vmcnt(0) lgkmcnt(0)
	flat_store_dwordx2 v[22:23], a[22:23] offset:104
	s_or_b64 exec, exec, s[6:7]
	v_cmp_ne_u32_e32 vcc, 64, v20
	s_and_saveexec_b64 s[4:5], vcc
	s_cbranch_execz .LBB2_1171
.LBB2_1154:
	s_waitcnt vmcnt(0)
	v_cmp_ne_u32_sdwa s[6:7], v9, v20 src0_sel:WORD_0 src1_sel:DWORD
	s_and_saveexec_b64 s[8:9], s[6:7]
	s_xor_b64 s[6:7], exec, s[8:9]
	s_cbranch_execz .LBB2_1169
; %bb.1155:
	v_and_b32_e32 v0, 63, v31
	v_cmp_eq_u32_e32 vcc, 0, v0
	s_and_saveexec_b64 s[8:9], vcc
	s_cbranch_execz .LBB2_1168
; %bb.1156:
	s_mov_b64 s[12:13], exec
	v_mbcnt_lo_u32_b32 v0, s12, 0
	v_mbcnt_hi_u32_b32 v0, s13, v0
	v_cmp_eq_u32_e32 vcc, 0, v0
	s_waitcnt lgkmcnt(0)
	buffer_wbinvl1_vol
	s_and_saveexec_b64 s[10:11], vcc
	s_cbranch_execz .LBB2_1158
; %bb.1157:
	s_bcnt1_i32_b64 s12, s[12:13]
	v_mov_b32_e32 v0, s12
	v_mov_b32_e32 v1, 0
	ds_add_u64 v0, v[0:1]
	s_trap 2
.LBB2_1158:
	s_or_b64 exec, exec, s[10:11]
	v_ashrrev_i32_e32 v0, 31, v20
	v_lshrrev_b32_e32 v0, 26, v0
	v_add_u32_e32 v0, v20, v0
	v_ashrrev_i32_e32 v0, 6, v0
	s_trap 2
	ds_read_b64 v[2:3], v0
	v_ashrrev_i32_e32 v1, 31, v0
	v_add_co_u32_e32 v0, vcc, v42, v0
	v_addc_co_u32_e32 v1, vcc, v43, v1, vcc
	s_waitcnt lgkmcnt(0)
	v_cmp_lt_u64_e32 vcc, v[2:3], v[0:1]
	s_and_saveexec_b64 s[10:11], vcc
	s_cbranch_execz .LBB2_1167
; %bb.1159:
	s_mov_b32 s24, 0
	s_mov_b64 s[12:13], 0
                                        ; implicit-def: $sgpr14_sgpr15
                                        ; implicit-def: $sgpr16_sgpr17
	s_branch .LBB2_1161
.LBB2_1160:                             ;   in Loop: Header=BB2_1161 Depth=1
	s_or_b64 exec, exec, s[22:23]
	s_and_b64 s[18:19], exec, s[20:21]
	s_or_b64 s[12:13], s[18:19], s[12:13]
	s_andn2_b64 s[14:15], s[14:15], exec
	s_and_b64 s[18:19], s[16:17], exec
	s_or_b64 s[14:15], s[14:15], s[18:19]
	s_andn2_b64 exec, exec, s[12:13]
	s_cbranch_execz .LBB2_1165
.LBB2_1161:                             ; =>This Inner Loop Header: Depth=1
	s_add_i32 s24, s24, 1
	s_cmpk_lg_i32 s24, 0x2710
	s_cselect_b64 s[18:19], -1, 0
	s_and_b64 vcc, exec, s[18:19]
                                        ; implicit-def: $sgpr22_sgpr23
	s_cbranch_vccnz .LBB2_1163
; %bb.1162:                             ;   in Loop: Header=BB2_1161 Depth=1
	s_trap 2
	ds_read_b64 v[2:3], v0
	s_andn2_b64 s[18:19], s[18:19], exec
	s_mov_b32 s24, 0
	s_mov_b64 s[22:23], -1
	s_waitcnt lgkmcnt(0)
	flat_load_dword v2, v[2:3] glc
	s_waitcnt vmcnt(0) lgkmcnt(0)
	buffer_invl2
	buffer_wbinvl1_vol
	v_cmp_eq_u32_e32 vcc, 0, v2
	s_and_b64 s[20:21], vcc, exec
	s_or_b64 s[18:19], s[18:19], s[20:21]
.LBB2_1163:                             ;   in Loop: Header=BB2_1161 Depth=1
	s_andn2_b64 s[16:17], s[16:17], exec
	s_and_b64 s[22:23], s[22:23], exec
	s_mov_b64 s[20:21], -1
	s_or_b64 s[16:17], s[16:17], s[22:23]
	s_and_saveexec_b64 s[22:23], s[18:19]
	s_cbranch_execz .LBB2_1160
; %bb.1164:                             ;   in Loop: Header=BB2_1161 Depth=1
	s_sleep 1
	s_trap 2
	ds_read_b64 v[2:3], v0
	s_andn2_b64 s[16:17], s[16:17], exec
	s_waitcnt lgkmcnt(0)
	v_cmp_ge_u64_e32 vcc, v[2:3], v[0:1]
	s_orn2_b64 s[20:21], vcc, exec
	s_branch .LBB2_1160
.LBB2_1165:
	s_or_b64 exec, exec, s[12:13]
	s_and_saveexec_b64 s[12:13], s[14:15]
	s_xor_b64 s[12:13], exec, s[12:13]
	s_cbranch_execz .LBB2_1167
; %bb.1166:
	v_mov_b32_e32 v0, 1
	ds_write_b32 v0, v0
	s_trap 2
.LBB2_1167:
	s_or_b64 exec, exec, s[10:11]
	;;#ASMSTART
	s_wakeup
	;;#ASMEND
.LBB2_1168:
	s_or_b64 exec, exec, s[8:9]
.LBB2_1169:
	s_andn2_saveexec_b64 s[6:7], s[6:7]
	s_cbranch_execz .LBB2_1171
; %bb.1170:
	s_waitcnt lgkmcnt(0)
	buffer_wbinvl1_vol
	s_barrier
.LBB2_1171:
	s_or_b64 exec, exec, s[4:5]
	buffer_load_dword a55, off, s[0:3], s32 ; 4-byte Folded Reload
	buffer_load_dword a54, off, s[0:3], s32 offset:4 ; 4-byte Folded Reload
	buffer_load_dword a52, off, s[0:3], s32 offset:8 ; 4-byte Folded Reload
	;; [unrolled: 1-line block ×37, first 2 shown]
	v_readlane_b32 s30, v63, 44
	v_readlane_b32 s31, v63, 45
	;; [unrolled: 1-line block ×46, first 2 shown]
	s_or_saveexec_b64 s[4:5], -1
	buffer_load_dword v63, off, s[0:3], s32 offset:152 ; 4-byte Folded Reload
	s_mov_b64 exec, s[4:5]
	s_waitcnt vmcnt(0) lgkmcnt(0)
	s_setpc_b64 s[30:31]
.Lfunc_end2:
	.size	_ZN12_GLOBAL__N_17runRingI14__hip_fp8_e5m213FuncPreMulSumIS1_E7ProtoLLLi0ELi2ELi0EEEviiP15ncclDevWorkColl, .Lfunc_end2-_ZN12_GLOBAL__N_17runRingI14__hip_fp8_e5m213FuncPreMulSumIS1_E7ProtoLLLi0ELi2ELi0EEEviiP15ncclDevWorkColl
                                        ; -- End function
	.section	.AMDGPU.csdata,"",@progbits
; Function info:
; codeLenInByte = 36792
; NumSgprs: 82
; NumVgprs: 64
; NumAgprs: 56
; TotalNumVgprs: 120
; ScratchSize: 160
; MemoryBound: 0
	.text
	.p2align	2                               ; -- Begin function _Z56ncclDevFunc_ReduceScatter_RING_LL_PreMulSum_f8e5m2_0_0_2v
	.type	_Z56ncclDevFunc_ReduceScatter_RING_LL_PreMulSum_f8e5m2_0_0_2v,@function
_Z56ncclDevFunc_ReduceScatter_RING_LL_PreMulSum_f8e5m2_0_0_2v: ; @_Z56ncclDevFunc_ReduceScatter_RING_LL_PreMulSum_f8e5m2_0_0_2v
; %bb.0:
	s_waitcnt vmcnt(0) expcnt(0) lgkmcnt(0)
	s_mov_b32 s4, s33
	s_mov_b32 s33, s32
	s_or_saveexec_b64 s[6:7], -1
	buffer_store_dword v43, off, s[0:3], s33 offset:16 ; 4-byte Folded Spill
	s_mov_b64 exec, s[6:7]
	v_writelane_b32 v43, s4, 54
	s_addk_i32 s32, 0x800
	buffer_store_dword v40, off, s[0:3], s33 offset:12 ; 4-byte Folded Spill
	buffer_store_dword v41, off, s[0:3], s33 offset:8 ; 4-byte Folded Spill
	;; [unrolled: 1-line block ×3, first 2 shown]
	buffer_store_dword v63, off, s[0:3], s33 ; 4-byte Folded Spill
	v_writelane_b32 v43, s34, 0
	v_writelane_b32 v43, s35, 1
	;; [unrolled: 1-line block ×54, first 2 shown]
	s_trap 2
	ds_read_b32 v0, v0
	v_mov_b32_e32 v40, v31
	v_and_b32_e32 v41, 0x3ff, v40
	s_mov_b32 s80, s12
	s_mov_b64 s[78:79], s[8:9]
	s_waitcnt lgkmcnt(0)
	v_cmp_lt_i32_e32 vcc, v41, v0
	s_and_saveexec_b64 s[4:5], vcc
	s_cbranch_execz .LBB3_5
; %bb.1:
	s_load_dword s6, s[78:79], 0x0
	v_mov_b32_e32 v1, 0
	s_mov_b32 s10, 0
	v_mov_b32_e32 v4, v41
                                        ; implicit-def: $vgpr2
	s_waitcnt lgkmcnt(0)
	s_cmp_lt_u32 s80, s6
	s_cselect_b32 s6, 12, 18
	s_add_u32 s6, s78, s6
	s_addc_u32 s7, s79, 0
	global_load_ushort v1, v1, s[6:7]
	s_trap 2
	ds_read_b32 v3, v0
	s_mov_b64 s[6:7], 0
	s_waitcnt vmcnt(0) lgkmcnt(0)
	v_mul_lo_u32 v3, v3, v1
	s_branch .LBB3_3
.LBB3_2:                                ;   in Loop: Header=BB3_3 Depth=1
	s_or_b64 exec, exec, s[8:9]
	v_add_u32_e32 v4, v4, v1
	v_cmp_ge_i32_e32 vcc, v4, v0
	s_or_b64 s[6:7], vcc, s[6:7]
	v_add_u32_e32 v2, v2, v3
	s_andn2_b64 exec, exec, s[6:7]
	s_cbranch_execz .LBB3_5
.LBB3_3:                                ; =>This Inner Loop Header: Depth=1
	ds_read_b32 v5, v2
	s_waitcnt lgkmcnt(0)
	v_and_b32_e32 v5, 0x1000000, v5
	v_cmp_ne_u32_e32 vcc, 0, v5
	s_and_saveexec_b64 s[8:9], vcc
	s_cbranch_execz .LBB3_2
; %bb.4:                                ;   in Loop: Header=BB3_3 Depth=1
	ds_read_b64 v[6:7], v2 offset:104
	s_waitcnt lgkmcnt(0)
	flat_load_ubyte v5, v[6:7]
	v_mov_b32_e32 v7, s10
	s_waitcnt vmcnt(0) lgkmcnt(0)
	v_and_b32_e32 v6, 0xffff, v5
	ds_write_b64 v2, v[6:7] offset:104
	s_branch .LBB3_2
.LBB3_5:
	s_or_b64 exec, exec, s[4:5]
	s_waitcnt lgkmcnt(0)
	s_barrier
	s_trap 2
	ds_read_b32 v0, v0
	s_waitcnt lgkmcnt(0)
	v_cmp_gt_i32_e32 vcc, 1, v0
	s_cbranch_vccnz .LBB3_13
; %bb.6:
	s_mov_b32 s81, 0
	s_mov_b64 s[82:83], src_shared_base
	v_mov_b32_e32 v42, 6
	s_branch .LBB3_8
.LBB3_7:                                ;   in Loop: Header=BB3_8 Depth=1
	s_or_b64 exec, exec, s[84:85]
	s_trap 2
	ds_read_b32 v0, v0
	s_add_i32 s81, s81, 1
	s_waitcnt lgkmcnt(0)
	v_cmp_lt_i32_e32 vcc, s81, v0
	s_cbranch_vccz .LBB3_13
.LBB3_8:                                ; =>This Inner Loop Header: Depth=1
	s_trap 2
	ds_read_b32 v0, v0
	s_cmp_eq_u32 s81, 0
	s_cbranch_scc1 .LBB3_11
; %bb.9:                                ;   in Loop: Header=BB3_8 Depth=1
	s_trap 2
	s_waitcnt lgkmcnt(0)
	ds_read_b32 v1, v0
	s_waitcnt lgkmcnt(0)
	v_xor_b32_e32 v1, v1, v0
	v_and_b32_e32 v1, 0xff0000, v1
	v_cmp_eq_u32_e32 vcc, 0, v1
	s_cbranch_vccnz .LBB3_11
; %bb.10:                               ;   in Loop: Header=BB3_8 Depth=1
	s_barrier
	ds_read_b32 v0, v0
.LBB3_11:                               ;   in Loop: Header=BB3_8 Depth=1
	s_waitcnt lgkmcnt(0)
	v_lshlrev_b32_sdwa v1, v42, v0 dst_sel:DWORD dst_unused:UNUSED_PAD src0_sel:DWORD src1_sel:BYTE_2
	v_cmp_lt_u32_e32 vcc, v41, v1
	s_and_saveexec_b64 s[84:85], vcc
	s_cbranch_execz .LBB3_7
; %bb.12:                               ;   in Loop: Header=BB3_8 Depth=1
	s_mov_b64 s[8:9], s[78:79]
	s_mov_b32 s12, s80
	v_mov_b32_e32 v31, v40
	v_mov_b32_e32 v0, v41
	;; [unrolled: 1-line block ×3, first 2 shown]
	s_getpc_b64 s[4:5]
	s_add_u32 s4, s4, _ZN12_GLOBAL__N_17runRingI14__hip_fp8_e5m213FuncPreMulSumIS1_E7ProtoLLLi0ELi2ELi0EEEviiP15ncclDevWorkColl@rel32@lo+4
	s_addc_u32 s5, s5, _ZN12_GLOBAL__N_17runRingI14__hip_fp8_e5m213FuncPreMulSumIS1_E7ProtoLLLi0ELi2ELi0EEEviiP15ncclDevWorkColl@rel32@hi+12
	s_swappc_b64 s[30:31], s[4:5]
	s_branch .LBB3_7
.LBB3_13:
	buffer_load_dword v63, off, s[0:3], s33 ; 4-byte Folded Reload
	buffer_load_dword v42, off, s[0:3], s33 offset:4 ; 4-byte Folded Reload
	buffer_load_dword v41, off, s[0:3], s33 offset:8 ; 4-byte Folded Reload
	;; [unrolled: 1-line block ×3, first 2 shown]
	v_readlane_b32 s30, v43, 52
	v_readlane_b32 s31, v43, 53
	;; [unrolled: 1-line block ×55, first 2 shown]
	s_or_saveexec_b64 s[6:7], -1
	buffer_load_dword v43, off, s[0:3], s33 offset:16 ; 4-byte Folded Reload
	s_mov_b64 exec, s[6:7]
	s_addk_i32 s32, 0xf800
	s_mov_b32 s33, s4
	s_waitcnt vmcnt(0)
	s_setpc_b64 s[30:31]
.Lfunc_end3:
	.size	_Z56ncclDevFunc_ReduceScatter_RING_LL_PreMulSum_f8e5m2_0_0_2v, .Lfunc_end3-_Z56ncclDevFunc_ReduceScatter_RING_LL_PreMulSum_f8e5m2_0_0_2v
                                        ; -- End function
	.section	.AMDGPU.csdata,"",@progbits
; Function info:
; codeLenInByte = 1472
; NumSgprs: 90
; NumVgprs: 64
; NumAgprs: 56
; TotalNumVgprs: 120
; ScratchSize: 192
; MemoryBound: 0
	.text
	.p2align	2                               ; -- Begin function _ZN12_GLOBAL__N_17runRingI14__hip_fp8_e5m213FuncPreMulSumIS1_E7ProtoLLLi0ELi4ELi0EEEviiP15ncclDevWorkColl
	.type	_ZN12_GLOBAL__N_17runRingI14__hip_fp8_e5m213FuncPreMulSumIS1_E7ProtoLLLi0ELi4ELi0EEEviiP15ncclDevWorkColl,@function
_ZN12_GLOBAL__N_17runRingI14__hip_fp8_e5m213FuncPreMulSumIS1_E7ProtoLLLi0ELi4ELi0EEEviiP15ncclDevWorkColl: ; @_ZN12_GLOBAL__N_17runRingI14__hip_fp8_e5m213FuncPreMulSumIS1_E7ProtoLLLi0ELi4ELi0EEEviiP15ncclDevWorkColl
; %bb.0:
	s_waitcnt vmcnt(0) expcnt(0) lgkmcnt(0)
	s_or_saveexec_b64 s[4:5], -1
	buffer_store_dword v63, off, s[0:3], s32 offset:152 ; 4-byte Folded Spill
	s_mov_b64 exec, s[4:5]
	buffer_store_dword v40, off, s[0:3], s32 offset:148 ; 4-byte Folded Spill
	buffer_store_dword v41, off, s[0:3], s32 offset:144 ; 4-byte Folded Spill
	;; [unrolled: 1-line block ×37, first 2 shown]
	buffer_store_dword a55, off, s[0:3], s32 ; 4-byte Folded Spill
	v_writelane_b32 v63, s34, 0
	v_writelane_b32 v63, s35, 1
	;; [unrolled: 1-line block ×46, first 2 shown]
	s_trap 2
	flat_load_dword v7, v[2:3]
	flat_load_dwordx4 v[12:15], v[2:3] offset:72
	flat_load_dwordx2 v[18:19], v[2:3] offset:88
	ds_read_b32 v5, v0
	ds_read_b64 a[6:7], v0
	v_mov_b32_e32 v20, v1
                                        ; implicit-def: $agpr8_agpr9
	s_waitcnt lgkmcnt(0)
	v_readfirstlane_b32 s20, v5
	s_waitcnt vmcnt(0)
	v_not_b32_sdwa v6, v7 dst_sel:DWORD dst_unused:UNUSED_PAD src0_sel:BYTE_0
	v_add_u32_sdwa v4, v7, v6 dst_sel:DWORD dst_unused:UNUSED_PAD src0_sel:BYTE_1 src1_sel:DWORD
	v_ashrrev_i32_e32 v10, 31, v4
	v_mul_lo_u32 v11, v15, v4
	v_mad_u64_u32 v[8:9], s[4:5], v14, v4, 0
	v_accvgpr_write_b32 a2, v12
	v_mul_lo_u32 v4, v14, v10
	v_accvgpr_write_b32 a3, v13
	v_accvgpr_write_b32 a4, v14
	;; [unrolled: 1-line block ×3, first 2 shown]
	v_add3_u32 v4, v9, v4, v11
	v_cmp_ne_u32_sdwa s[4:5], v7, v5 src0_sel:BYTE_0 src1_sel:DWORD
                                        ; implicit-def: $vgpr10_vgpr11
	s_and_saveexec_b64 s[6:7], s[4:5]
	s_xor_b64 s[4:5], exec, s[6:7]
	s_cbranch_execz .LBB4_6
; %bb.1:
	v_cmp_ne_u32_sdwa s[6:7], v7, v5 src0_sel:BYTE_1 src1_sel:DWORD
                                        ; implicit-def: $vgpr10_vgpr11
                                        ; implicit-def: $agpr8_agpr9
	s_and_saveexec_b64 s[10:11], s[6:7]
	s_xor_b64 s[6:7], exec, s[10:11]
	s_cbranch_execz .LBB4_3
; %bb.2:
	flat_load_dwordx2 v[10:11], v[2:3] offset:96
	v_add_u32_e32 v5, v5, v6
	v_accvgpr_read_b32 v15, a5
	v_ashrrev_i32_e32 v6, 31, v5
	v_accvgpr_read_b32 v14, a4
	v_accvgpr_read_b32 v13, a3
	;; [unrolled: 1-line block ×3, first 2 shown]
	v_mul_lo_u32 v6, v14, v6
	v_mul_lo_u32 v7, v15, v5
	v_mad_u64_u32 v[12:13], s[10:11], v14, v5, v[12:13]
	v_add3_u32 v13, v7, v13, v6
	v_accvgpr_write_b32 a8, v12
	v_accvgpr_write_b32 a9, v13
	s_waitcnt vmcnt(0) lgkmcnt(0)
	v_lshrrev_b64 v[10:11], 17, v[10:11]
.LBB4_3:
	s_andn2_saveexec_b64 s[6:7], s[6:7]
	s_cbranch_execz .LBB4_5
; %bb.4:
	flat_load_dword v5, v[2:3] offset:100
	v_accvgpr_read_b32 v13, a3
	v_accvgpr_read_b32 v12, a2
	v_add_co_u32_e32 v6, vcc, v8, v12
	v_addc_co_u32_e32 v7, vcc, v4, v13, vcc
	v_accvgpr_write_b32 a9, v7
	v_pk_mov_b32 v[14:15], v[18:19], v[18:19] op_sel:[0,1]
	v_accvgpr_write_b32 a2, v12
	v_accvgpr_write_b32 a8, v6
	;; [unrolled: 1-line block ×5, first 2 shown]
	s_waitcnt vmcnt(0) lgkmcnt(0)
	v_lshrrev_b32_e32 v10, 6, v5
.LBB4_5:
	s_or_b64 exec, exec, s[6:7]
.LBB4_6:
	s_andn2_saveexec_b64 s[4:5], s[4:5]
	s_cbranch_execz .LBB4_8
; %bb.7:
	flat_load_dwordx2 v[6:7], v[2:3] offset:96
	v_pk_mov_b32 v[10:11], 0, 0
	v_accvgpr_write_b32 a8, v10
	v_accvgpr_mov_b32 a5, a3
	v_accvgpr_write_b32 a9, v11
	v_accvgpr_mov_b32 a4, a2
	s_waitcnt vmcnt(0) lgkmcnt(0)
	v_lshlrev_b64 v[10:11], 4, v[6:7]
.LBB4_8:
	s_or_b64 exec, exec, s[4:5]
	flat_load_dwordx2 v[14:15], v[2:3] offset:104
	flat_load_dwordx4 a[10:13], v[2:3] offset:16
	flat_load_ushort v13, v[2:3] offset:8
	flat_load_dword v12, v[2:3] offset:4
	v_mov_b32_e32 v2, 0
	s_mov_b32 s13, 0
	v_mov_b32_e32 v62, 0
	s_waitcnt vmcnt(0) lgkmcnt(0)
	v_cmp_ne_u16_sdwa s[6:7], v14, v2 src0_sel:BYTE_0 src1_sel:DWORD
	s_and_saveexec_b64 s[4:5], s[6:7]
	s_cbranch_execz .LBB4_16
; %bb.9:
	v_bfe_i32 v3, v14, 0, 8
	s_movk_i32 s6, 0xff80
	v_cmp_ne_u16_e32 vcc, s6, v3
	v_bfrev_b32_e32 v62, 1
	s_and_saveexec_b64 s[6:7], vcc
	s_cbranch_execz .LBB4_15
; %bb.10:
	s_movk_i32 s10, 0x7c
	v_and_b32_e32 v6, 0x7c, v14
	v_and_b32_e32 v5, 3, v14
	v_cmp_ne_u32_e32 vcc, s10, v6
                                        ; implicit-def: $vgpr62
	s_and_saveexec_b64 s[10:11], vcc
	s_xor_b64 s[10:11], exec, s[10:11]
	s_cbranch_execz .LBB4_12
; %bb.11:
	v_ffbh_u32_e32 v6, v5
	v_min_u32_e32 v11, 32, v6
	v_subrev_u32_e32 v6, 29, v11
	v_bfe_u32 v9, v14, 2, 5
	v_lshlrev_b64 v[6:7], v6, v[14:15]
	v_sub_u32_e32 v7, 30, v11
	v_and_b32_e32 v6, 3, v6
	v_cmp_eq_u32_e32 vcc, 0, v9
	v_cndmask_b32_e32 v7, v9, v7, vcc
	v_cndmask_b32_e32 v5, v5, v6, vcc
	v_bfrev_b32_e32 v6, 28
	v_bfe_i32 v3, v3, 0, 16
	v_lshl_add_u32 v6, v7, 23, v6
	s_brev_b32 s14, 1
	v_and_or_b32 v3, v3, s14, v6
	v_lshl_or_b32 v62, v5, 21, v3
                                        ; implicit-def: $vgpr5
                                        ; implicit-def: $vgpr3
.LBB4_12:
	s_andn2_saveexec_b64 s[10:11], s[10:11]
; %bb.13:
	v_mov_b32_e32 v6, 0xc7600000
	v_mov_b32_e32 v7, 0x47600000
	v_cmp_lt_i16_e32 vcc, -1, v3
	v_cndmask_b32_e32 v3, v6, v7, vcc
	v_mov_b32_e32 v6, 0x7f800001
	v_cmp_eq_u32_e32 vcc, 0, v5
	v_cndmask_b32_e32 v62, v6, v3, vcc
; %bb.14:
	s_or_b64 exec, exec, s[10:11]
.LBB4_15:
	s_or_b64 exec, exec, s[6:7]
.LBB4_16:
	s_or_b64 exec, exec, s[4:5]
	s_load_dword s4, s[8:9], 0x0
	v_lshrrev_b64 v[6:7], 31, v[12:13]
	v_mov_b32_e32 v12, v0
	v_and_b32_e32 v5, 63, v12
	v_and_b32_e32 v6, 3, v6
	s_waitcnt lgkmcnt(0)
	s_cmp_lt_u32 s12, s4
	s_cselect_b32 s4, 12, 18
	s_add_u32 s4, s8, s4
	s_addc_u32 s5, s9, 0
	global_load_ushort v9, v2, s[4:5]
	s_trap 2
	ds_read_b32 v2, v0
	v_pk_mov_b32 v[22:23], 0, 0
	v_cmp_eq_u32_e64 s[4:5], 0, v5
	s_waitcnt lgkmcnt(0)
	v_cmp_gt_i32_e32 vcc, 0, v2
	v_readfirstlane_b32 s8, v2
	s_cbranch_vccnz .LBB4_18
; %bb.17:
	s_trap 2
	ds_read_b64 v[12:13], v0
	v_mov_b32_e32 v3, 0
	v_lshlrev_b64 v[2:3], 3, v[2:3]
	v_and_b32_e32 v7, 0xffff, v6
	s_movk_i32 s6, 0xa8
	s_waitcnt lgkmcnt(0)
	v_add_co_u32_e32 v2, vcc, v12, v2
	v_addc_co_u32_e32 v3, vcc, v13, v3, vcc
	flat_load_dwordx2 v[2:3], v[2:3]
	s_mov_b32 s13, 1
	s_waitcnt vmcnt(0) lgkmcnt(0)
	v_mad_u64_u32 v[2:3], s[6:7], v7, s6, v[2:3]
	flat_load_dwordx2 a[18:19], v[2:3] offset:504
	flat_load_dwordx2 v[34:35], v[2:3] offset:608
	v_add_co_u32_e32 v2, vcc, 0x1f8, v2
	v_addc_co_u32_e32 v3, vcc, 0, v3, vcc
	v_cndmask_b32_e64 v25, 0, v3, s[4:5]
	v_cndmask_b32_e64 v24, 0, v2, s[4:5]
	s_branch .LBB4_19
.LBB4_18:
	v_pk_mov_b32 v[24:25], v[22:23], v[22:23] op_sel:[0,1]
                                        ; implicit-def: $vgpr34_vgpr35
                                        ; implicit-def: $agpr18_agpr19
.LBB4_19:
	s_trap 2
	ds_read_b32 v2, v0
	s_waitcnt lgkmcnt(0)
	v_cmp_gt_i32_e32 vcc, 0, v2
	s_cbranch_vccnz .LBB4_21
; %bb.20:
	s_trap 2
	ds_read_b64 v[12:13], v0
	v_mov_b32_e32 v3, 0
	v_lshlrev_b64 v[2:3], 3, v[2:3]
	v_and_b32_e32 v6, 0xffff, v6
	s_movk_i32 s4, 0xa8
	s_waitcnt lgkmcnt(0)
	v_add_co_u32_e32 v2, vcc, v12, v2
	v_addc_co_u32_e32 v3, vcc, v13, v3, vcc
	flat_load_dwordx2 v[2:3], v[2:3]
	v_cmp_eq_u32_e32 vcc, 0, v5
	s_waitcnt vmcnt(0) lgkmcnt(0)
	v_mad_u64_u32 v[2:3], s[4:5], v6, s4, v[2:3]
	flat_load_dwordx2 a[24:25], v[2:3]
	flat_load_dwordx2 v[16:17], v[2:3] offset:104
	v_cndmask_b32_e32 v23, 0, v3, vcc
	v_cndmask_b32_e32 v22, 0, v2, vcc
	s_branch .LBB4_22
.LBB4_21:
                                        ; implicit-def: $vgpr16_vgpr17
                                        ; implicit-def: $agpr24_agpr25
.LBB4_22:
	v_subrev_u32_e32 v2, 64, v20
	v_mov_b32_e32 v6, v0
	v_cmp_le_i32_e32 vcc, v2, v6
	v_pk_mov_b32 v[2:3], 0, 0
	v_cmp_gt_u32_e64 s[4:5], s13, v5
	v_accvgpr_write_b32 a21, v3
	v_accvgpr_write_b32 a29, v3
	s_and_b64 s[22:23], vcc, s[4:5]
	v_accvgpr_write_b32 a20, v2
	v_accvgpr_write_b32 a28, v2
                                        ; implicit-def: $agpr26_agpr27
	s_and_saveexec_b64 s[4:5], s[22:23]
	s_cbranch_execz .LBB4_24
; %bb.23:
	flat_load_dwordx2 a[28:29], v[24:25] offset:56
	flat_load_dwordx2 a[26:27], v[24:25] offset:104
.LBB4_24:
	s_or_b64 exec, exec, s[4:5]
	v_mov_b32_e32 v2, v0
	v_accvgpr_read_b32 v51, a21
	v_cmp_gt_i32_e64 s[4:5], s13, v2
	v_accvgpr_read_b32 v50, a20
                                        ; implicit-def: $vgpr52_vgpr53
	s_and_saveexec_b64 s[6:7], s[4:5]
	s_cbranch_execz .LBB4_26
; %bb.25:
	flat_load_dwordx2 v[50:51], v[22:23] offset:56
	s_waitcnt vmcnt(0) lgkmcnt(0)
	flat_load_dwordx2 v[52:53], v[50:51] glc
	s_waitcnt vmcnt(0)
	flat_load_dwordx4 a[20:23], v[22:23] offset:96
.LBB4_26:
	s_or_b64 exec, exec, s[6:7]
	v_accvgpr_read_b32 v15, a5
	v_accvgpr_read_b32 v14, a4
	;; [unrolled: 1-line block ×4, first 2 shown]
	v_cmp_ne_u64_e32 vcc, 0, v[14:15]
	v_pk_mov_b32 v[42:43], 0, 0
	s_and_saveexec_b64 s[24:25], vcc
	s_cbranch_execz .LBB4_1148
; %bb.27:
	v_add_co_u32_e32 v1, vcc, v18, v12
	s_ashr_i32 s6, s8, 31
	v_addc_co_u32_e32 v2, vcc, v19, v13, vcc
	s_lshr_b32 s6, s6, 29
	v_add_co_u32_e32 v1, vcc, v1, v8
	s_ashr_i32 s21, s20, 31
	s_add_i32 s8, s8, s6
	v_accvgpr_write_b32 a3, v1
	v_addc_co_u32_e32 v1, vcc, v2, v4, vcc
	s_lshl_b64 s[6:7], s[20:21], 2
	v_accvgpr_read_b32 v2, a6
	v_accvgpr_write_b32 a32, v1
	v_mov_b32_e32 v1, s7
	v_accvgpr_read_b32 v3, a7
	v_add_co_u32_e32 v2, vcc, s6, v2
	v_addc_co_u32_e32 v1, vcc, v3, v1, vcc
	v_add_co_u32_e32 v2, vcc, -4, v2
	v_addc_co_u32_e32 v3, vcc, -1, v1, vcc
	v_accvgpr_write_b32 a35, v3
	v_accvgpr_write_b32 a34, v2
	s_waitcnt vmcnt(0) lgkmcnt(0)
	v_accvgpr_read_b32 v2, a20
	v_mov_b32_e32 v55, 0
	v_accvgpr_read_b32 v3, a21
	v_accvgpr_read_b32 v4, a22
	;; [unrolled: 1-line block ×3, first 2 shown]
	v_and_b32_e32 v1, 63, v31
	v_ashrrev_i32_e32 v21, 31, v20
	s_ashr_i32 s10, s8, 3
	s_ashr_i32 s60, s8, 7
	v_and_b32_e32 v6, 0x1fffff0, v10
	v_mov_b32_e32 v7, v55
	v_cmp_ne_u64_e64 s[8:9], 0, v[2:3]
	v_cmp_eq_u32_e64 s[12:13], 0, v1
	v_lshrrev_b32_e32 v1, 26, v21
	v_accvgpr_read_b32 v2, a10
	v_accvgpr_write_b32 a1, v9
	v_cmp_ne_u32_sdwa s[28:29], v9, v20 src0_sel:WORD_0 src1_sel:DWORD
	v_pk_mov_b32 v[8:9], v[6:7], v[6:7] op_sel:[0,1]
	v_add_u32_e32 v1, v20, v1
	v_lshlrev_b32_e32 v6, 3, v0
	v_accvgpr_read_b32 v4, a12
	v_ashrrev_i32_e32 v10, 6, v1
	v_ashrrev_i32_e32 v1, 31, v6
	v_accvgpr_read_b32 v5, a13
	v_add_co_u32_e32 v7, vcc, v4, v6
	v_addc_co_u32_e32 v11, vcc, v5, v1, vcc
	v_accvgpr_read_b32 v3, a11
	v_add_co_u32_e32 v2, vcc, v2, v6
	v_accvgpr_write_b32 a40, v2
	v_accvgpr_write_b32 a33, v1
	v_addc_co_u32_e32 v1, vcc, v3, v1, vcc
	v_accvgpr_read_b32 v2, a8
	v_accvgpr_read_b32 v3, a9
	v_add_co_u32_e32 v2, vcc, v7, v2
	v_accvgpr_write_b32 a41, v1
	v_addc_co_u32_e32 v3, vcc, v11, v3, vcc
	v_lshlrev_b32_e32 v1, 6, v20
	v_accvgpr_write_b32 a43, v3
	v_accvgpr_write_b32 a44, v1
	v_ashrrev_i32_e32 v1, 31, v0
	v_accvgpr_write_b32 a42, v2
	v_accvgpr_write_b32 a2, v0
	v_lshlrev_b64 v[0:1], 4, v[0:1]
	v_accvgpr_read_b32 v2, a24
	s_and_b32 s21, s10, -16
	v_accvgpr_read_b32 v4, a28
	v_accvgpr_read_b32 v3, a25
	v_add_co_u32_e32 v0, vcc, v2, v0
	v_accvgpr_write_b32 a16, v24
	v_accvgpr_write_b32 a14, v22
	s_cmp_gt_i32 s20, 2
	v_accvgpr_read_b32 v5, a29
	v_accvgpr_write_b32 a45, v0
	v_addc_co_u32_e32 v0, vcc, v3, v1, vcc
	s_mov_b32 s36, -1
	v_ashrrev_i32_e32 v1, 31, v10
	v_lshlrev_b32_e32 v56, 3, v20
	v_pk_mov_b32 v[44:45], 0, 0
	v_accvgpr_write_b32 a10, v50
	v_accvgpr_write_b32 a31, v9
	;; [unrolled: 1-line block ×4, first 2 shown]
	s_mov_b64 s[26:27], 0
	v_cmp_ne_u64_e64 s[6:7], 0, v[50:51]
	v_cmp_ne_u32_e64 s[10:11], 64, v20
	v_accvgpr_write_b32 a0, v31
	s_cselect_b64 s[30:31], -1, 0
	v_cmp_ne_u64_e64 s[14:15], 0, v[4:5]
	v_accvgpr_write_b32 a38, v6
	v_accvgpr_write_b32 a37, v7
	;; [unrolled: 1-line block ×4, first 2 shown]
	s_movk_i32 s61, 0x2710
	s_mov_b64 s[34:35], 0x7ffffff8
	s_movk_i32 s62, 0xff
	s_movk_i32 s63, 0xff80
	;; [unrolled: 1-line block ×3, first 2 shown]
	s_brev_b32 s65, 1
	s_mov_b32 s37, 0xffffff
	s_movk_i32 s66, 0x80
	s_mov_b64 s[38:39], 0x7f800000
	s_mov_b64 s[40:41], 0x47600001
	s_movk_i32 s67, 0x72
	s_mov_b64 s[42:43], 0xffffff
	s_movk_i32 s68, 0x7f
	s_mov_b32 s69, 0x7c0000
	s_brev_b32 s70, 62
	s_mov_b32 s71, 0xc0c0500
	s_mov_b32 s72, 0x6050400
	;; [unrolled: 1-line block ×5, first 2 shown]
	v_bfrev_b32_e32 v7, 28
	v_mov_b32_e32 v47, -1
	v_mov_b32_e32 v24, 0xc7600000
	v_mov_b32_e32 v25, 0x47600000
	;; [unrolled: 1-line block ×6, first 2 shown]
	v_accvgpr_write_b32 a36, v10
	v_accvgpr_write_b32 a47, v1
	v_ashrrev_i32_e32 v57, 31, v56
	v_lshlrev_b64 v[58:59], 4, v[20:21]
	v_pk_mov_b32 v[42:43], v[44:45], v[44:45] op_sel:[0,1]
	v_pk_mov_b32 v[4:5], v[14:15], v[14:15] op_sel:[0,1]
	v_accvgpr_write_b32 a11, v51
	v_accvgpr_write_b32 a30, v8
	s_branch .LBB4_29
.LBB4_28:                               ;   in Loop: Header=BB4_29 Depth=1
	s_or_b64 exec, exec, s[16:17]
	v_add_co_u32_e32 v34, vcc, 1, v34
	v_addc_co_u32_e32 v35, vcc, 0, v35, vcc
	v_add_co_u32_e32 v44, vcc, v44, v8
	v_addc_co_u32_e32 v45, vcc, 0, v45, vcc
	v_cmp_ge_u64_e32 vcc, v[44:45], v[4:5]
	v_accvgpr_read_b32 v0, a42
	s_or_b64 s[26:27], vcc, s[26:27]
	v_accvgpr_read_b32 v1, a43
	v_add_co_u32_e32 v0, vcc, v0, v8
	v_addc_co_u32_e32 v1, vcc, 0, v1, vcc
	v_accvgpr_write_b32 a43, v1
	v_accvgpr_write_b32 a42, v0
	s_andn2_b64 exec, exec, s[26:27]
	s_cbranch_execz .LBB4_1147
.LBB4_29:                               ; =>This Loop Header: Depth=1
                                        ;     Child Loop BB4_36 Depth 2
                                        ;     Child Loop BB4_53 Depth 2
	;; [unrolled: 1-line block ×5, first 2 shown]
                                        ;       Child Loop BB4_253 Depth 3
                                        ;       Child Loop BB4_269 Depth 3
	;; [unrolled: 1-line block ×3, first 2 shown]
                                        ;         Child Loop BB4_290 Depth 4
                                        ;       Child Loop BB4_690 Depth 3
                                        ;       Child Loop BB4_246 Depth 3
                                        ;     Child Loop BB4_707 Depth 2
                                        ;       Child Loop BB4_715 Depth 3
                                        ;     Child Loop BB4_1134 Depth 2
	v_accvgpr_read_b32 v0, a34
	v_accvgpr_read_b32 v1, a35
	s_waitcnt vmcnt(0) lgkmcnt(0)
	flat_load_dword v2, v[0:1]
	v_sub_co_u32_e32 v0, vcc, v4, v44
	v_subb_co_u32_e32 v1, vcc, v5, v45, vcc
	v_cmp_lt_u64_e32 vcc, v[8:9], v[0:1]
	v_cndmask_b32_e32 v3, v0, v8, vcc
	v_lshl_add_u32 v0, v3, 1, 14
	v_and_b32_e32 v0, 0x7fffff0, v0
	v_accvgpr_write_b32 a50, v0
	s_and_saveexec_b64 s[16:17], s[6:7]
	s_cbranch_execz .LBB4_45
; %bb.30:                               ;   in Loop: Header=BB4_29 Depth=1
	v_accvgpr_read_b32 v8, a20
	v_accvgpr_read_b32 v10, a22
	;; [unrolled: 1-line block ×3, first 2 shown]
	v_add_co_u32_e32 v0, vcc, 1, v10
	v_addc_co_u32_e32 v1, vcc, 0, v11, vcc
	v_add_co_u32_e32 v4, vcc, 8, v52
	v_addc_co_u32_e32 v5, vcc, 0, v53, vcc
	v_cmp_lt_u64_e32 vcc, v[4:5], v[0:1]
	v_accvgpr_read_b32 v9, a21
	s_and_saveexec_b64 s[18:19], vcc
	s_cbranch_execz .LBB4_42
; %bb.31:                               ;   in Loop: Header=BB4_29 Depth=1
	s_sleep 1
	flat_load_dwordx2 v[52:53], v[50:51] glc
	v_cmp_eq_u32_e32 vcc, 0, v30
	s_and_saveexec_b64 s[44:45], vcc
	s_cbranch_execz .LBB4_41
; %bb.32:                               ;   in Loop: Header=BB4_29 Depth=1
	v_cndmask_b32_e64 v4, 0, 1, vcc
	s_mov_b64 s[46:47], 0
                                        ; implicit-def: $sgpr48_sgpr49
	s_branch .LBB4_36
.LBB4_33:                               ;   in Loop: Header=BB4_36 Depth=2
	s_or_b64 exec, exec, s[56:57]
	s_orn2_b64 s[54:55], s[54:55], exec
.LBB4_34:                               ;   in Loop: Header=BB4_36 Depth=2
	s_or_b64 exec, exec, s[52:53]
	s_xor_b64 vcc, s[54:55], -1
	s_andn2_b64 s[48:49], s[48:49], exec
	s_and_b64 vcc, vcc, exec
	s_or_b64 s[48:49], s[48:49], vcc
.LBB4_35:                               ;   in Loop: Header=BB4_36 Depth=2
	s_or_b64 exec, exec, s[50:51]
	s_and_b64 vcc, exec, s[48:49]
	s_or_b64 s[46:47], vcc, s[46:47]
	s_andn2_b64 exec, exec, s[46:47]
	s_cbranch_execz .LBB4_40
.LBB4_36:                               ;   Parent Loop BB4_29 Depth=1
                                        ; =>  This Inner Loop Header: Depth=2
	s_waitcnt vmcnt(0) lgkmcnt(0)
	v_add_co_u32_e32 v8, vcc, 8, v52
	v_addc_co_u32_e32 v9, vcc, 0, v53, vcc
	v_cmp_lt_u64_e32 vcc, v[8:9], v[0:1]
	v_mov_b32_e32 v30, 0
	s_or_b64 s[48:49], s[48:49], exec
	s_and_saveexec_b64 s[50:51], vcc
	s_cbranch_execz .LBB4_35
; %bb.37:                               ;   in Loop: Header=BB4_36 Depth=2
	s_sleep 1
	flat_load_dwordx2 v[52:53], v[50:51] glc
	v_add_u32_e32 v4, 1, v4
	v_cmp_eq_u32_e32 vcc, s61, v4
	s_mov_b64 s[54:55], -1
	v_mov_b32_e32 v30, 0
	s_and_saveexec_b64 s[52:53], vcc
	s_cbranch_execz .LBB4_34
; %bb.38:                               ;   in Loop: Header=BB4_36 Depth=2
	s_trap 2
	ds_read_b64 v[4:5], v0
	v_mov_b32_e32 v30, 0
	s_waitcnt vmcnt(0) lgkmcnt(0)
	flat_load_dword v5, v[4:5] glc
	s_waitcnt vmcnt(0) lgkmcnt(0)
	buffer_invl2
	buffer_wbinvl1_vol
	v_mov_b32_e32 v4, 0
	v_cmp_ne_u32_e32 vcc, 0, v5
	s_and_saveexec_b64 s[56:57], vcc
	s_cbranch_execz .LBB4_33
; %bb.39:                               ;   in Loop: Header=BB4_36 Depth=2
	v_mov_b32_e32 v30, 1
	s_xor_b64 s[54:55], exec, -1
	ds_write_b32 v0, v5
	s_trap 2
	s_branch .LBB4_33
.LBB4_40:                               ;   in Loop: Header=BB4_29 Depth=1
	s_or_b64 exec, exec, s[46:47]
.LBB4_41:                               ;   in Loop: Header=BB4_29 Depth=1
	s_or_b64 exec, exec, s[44:45]
.LBB4_42:                               ;   in Loop: Header=BB4_29 Depth=1
	s_or_b64 exec, exec, s[18:19]
	s_and_saveexec_b64 s[18:19], s[8:9]
	s_cbranch_execz .LBB4_44
; %bb.43:                               ;   in Loop: Header=BB4_29 Depth=1
	v_accvgpr_read_b32 v10, a20
	v_accvgpr_read_b32 v12, a22
	v_and_b32_e32 v54, 0x7ffffff8, v12
	v_mov_b32_e32 v4, s21
	v_cmp_eq_u64_e32 vcc, s[34:35], v[54:55]
	v_accvgpr_read_b32 v5, a50
	v_accvgpr_read_b32 v11, a21
	v_cndmask_b32_e32 v4, v5, v4, vcc
	v_and_b32_e32 v8, 7, v12
	v_ashrrev_i32_e32 v5, 31, v4
	v_mad_u64_u32 v[8:9], vcc, v8, 24, v[10:11]
	flat_store_dwordx2 v[8:9], v[4:5] offset:8
	s_waitcnt vmcnt(0)
.LBB4_44:                               ;   in Loop: Header=BB4_29 Depth=1
	s_or_b64 exec, exec, s[18:19]
	v_accvgpr_write_b32 a23, v1
	v_accvgpr_read_b32 v8, a30
	v_accvgpr_write_b32 a22, v0
	v_accvgpr_read_b32 v9, a31
.LBB4_45:                               ;   in Loop: Header=BB4_29 Depth=1
	s_or_b64 exec, exec, s[16:17]
	s_and_saveexec_b64 s[16:17], s[10:11]
	s_cbranch_execz .LBB4_64
; %bb.46:                               ;   in Loop: Header=BB4_29 Depth=1
	s_and_saveexec_b64 s[18:19], s[28:29]
	s_xor_b64 s[18:19], exec, s[18:19]
	s_cbranch_execz .LBB4_61
; %bb.47:                               ;   in Loop: Header=BB4_29 Depth=1
	s_and_saveexec_b64 s[44:45], s[12:13]
	s_cbranch_execz .LBB4_60
; %bb.48:                               ;   in Loop: Header=BB4_29 Depth=1
	s_mov_b64 s[48:49], exec
	v_mbcnt_lo_u32_b32 v0, s48, 0
	v_mbcnt_hi_u32_b32 v0, s49, v0
	v_cmp_eq_u32_e32 vcc, 0, v0
	s_waitcnt vmcnt(0) lgkmcnt(0)
	buffer_wbinvl1_vol
	s_and_saveexec_b64 s[46:47], vcc
	s_cbranch_execz .LBB4_50
; %bb.49:                               ;   in Loop: Header=BB4_29 Depth=1
	s_bcnt1_i32_b64 vcc_lo, s[48:49]
	v_mov_b32_e32 v54, vcc_lo
	ds_add_u64 v0, v[54:55]
	s_trap 2
.LBB4_50:                               ;   in Loop: Header=BB4_29 Depth=1
	s_or_b64 exec, exec, s[46:47]
	s_trap 2
	ds_read_b64 v[0:1], v0
	v_accvgpr_read_b32 v4, a36
	v_add_co_u32_e32 v42, vcc, v42, v4
	v_accvgpr_read_b32 v5, a47
	v_addc_co_u32_e32 v43, vcc, v43, v5, vcc
	s_waitcnt lgkmcnt(0)
	v_cmp_lt_u64_e32 vcc, v[0:1], v[42:43]
	s_and_saveexec_b64 s[46:47], vcc
	s_cbranch_execz .LBB4_59
; %bb.51:                               ;   in Loop: Header=BB4_29 Depth=1
	s_mov_b32 s58, 0
	s_mov_b64 s[48:49], 0
                                        ; implicit-def: $sgpr50_sgpr51
                                        ; implicit-def: $sgpr52_sgpr53
	s_branch .LBB4_53
.LBB4_52:                               ;   in Loop: Header=BB4_53 Depth=2
	s_or_b64 exec, exec, s[56:57]
	s_and_b64 vcc, exec, vcc
	s_or_b64 s[48:49], vcc, s[48:49]
	s_andn2_b64 vcc, s[50:51], exec
	s_and_b64 s[50:51], s[52:53], exec
	s_or_b64 s[50:51], vcc, s[50:51]
	s_andn2_b64 exec, exec, s[48:49]
	s_cbranch_execz .LBB4_57
.LBB4_53:                               ;   Parent Loop BB4_29 Depth=1
                                        ; =>  This Inner Loop Header: Depth=2
	s_add_i32 s58, s58, 1
	s_cmpk_lg_i32 s58, 0x2710
	s_cselect_b64 s[54:55], -1, 0
	s_and_b64 vcc, exec, s[54:55]
                                        ; implicit-def: $sgpr56_sgpr57
	s_cbranch_vccnz .LBB4_55
; %bb.54:                               ;   in Loop: Header=BB4_53 Depth=2
	s_trap 2
	ds_read_b64 v[0:1], v0
	s_andn2_b64 s[54:55], s[54:55], exec
	s_mov_b32 s58, 0
	s_mov_b64 s[56:57], -1
	s_waitcnt lgkmcnt(0)
	flat_load_dword v0, v[0:1] glc
	s_waitcnt vmcnt(0) lgkmcnt(0)
	buffer_invl2
	buffer_wbinvl1_vol
	v_cmp_eq_u32_e32 vcc, 0, v0
	s_and_b64 vcc, vcc, exec
	s_or_b64 s[54:55], s[54:55], vcc
.LBB4_55:                               ;   in Loop: Header=BB4_53 Depth=2
	s_andn2_b64 s[52:53], s[52:53], exec
	s_and_b64 s[56:57], s[56:57], exec
	s_mov_b64 vcc, -1
	s_or_b64 s[52:53], s[52:53], s[56:57]
	s_and_saveexec_b64 s[56:57], s[54:55]
	s_cbranch_execz .LBB4_52
; %bb.56:                               ;   in Loop: Header=BB4_53 Depth=2
	s_sleep 1
	s_trap 2
	ds_read_b64 v[0:1], v0
	s_andn2_b64 s[52:53], s[52:53], exec
	s_waitcnt lgkmcnt(0)
	v_cmp_ge_u64_e32 vcc, v[0:1], v[42:43]
	s_orn2_b64 vcc, vcc, exec
	s_branch .LBB4_52
.LBB4_57:                               ;   in Loop: Header=BB4_29 Depth=1
	s_or_b64 exec, exec, s[48:49]
	s_and_saveexec_b64 vcc, s[50:51]
	s_xor_b64 vcc, exec, vcc
	s_cbranch_execz .LBB4_59
; %bb.58:                               ;   in Loop: Header=BB4_29 Depth=1
	v_mov_b32_e32 v0, 1
	ds_write_b32 v0, v0
	s_trap 2
.LBB4_59:                               ;   in Loop: Header=BB4_29 Depth=1
	s_or_b64 exec, exec, s[46:47]
	;;#ASMSTART
	s_wakeup
	;;#ASMEND
.LBB4_60:                               ;   in Loop: Header=BB4_29 Depth=1
	s_or_b64 exec, exec, s[44:45]
.LBB4_61:                               ;   in Loop: Header=BB4_29 Depth=1
	s_andn2_saveexec_b64 s[18:19], s[18:19]
	s_cbranch_execz .LBB4_63
; %bb.62:                               ;   in Loop: Header=BB4_29 Depth=1
	s_waitcnt vmcnt(0) lgkmcnt(0)
	buffer_wbinvl1_vol
	s_barrier
.LBB4_63:                               ;   in Loop: Header=BB4_29 Depth=1
	s_or_b64 exec, exec, s[18:19]
.LBB4_64:                               ;   in Loop: Header=BB4_29 Depth=1
	s_or_b64 exec, exec, s[16:17]
	v_accvgpr_read_b32 v0, a38
	v_sub_u32_e32 v46, v3, v0
	v_cmp_lt_i32_e64 s[16:17], 0, v46
	v_and_b32_e32 v1, 7, v16
	v_accvgpr_read_b32 v0, a2
	s_mov_b64 s[44:45], exec
	v_accvgpr_write_b32 a49, v45
	s_and_b64 s[18:19], s[44:45], s[16:17]
	v_accvgpr_write_b32 a48, v44
	s_mov_b64 exec, s[18:19]
	s_cbranch_execz .LBB4_232
; %bb.65:                               ;   in Loop: Header=BB4_29 Depth=1
	v_accvgpr_read_b32 v14, a42
	s_waitcnt vmcnt(0) lgkmcnt(0)
	v_ashrrev_i32_e32 v0, 31, v2
	v_accvgpr_read_b32 v12, a3
	v_accvgpr_read_b32 v15, a43
	;; [unrolled: 1-line block ×3, first 2 shown]
	v_mul_lo_u32 v4, v1, s60
	v_mad_u64_u32 v[10:11], s[18:19], v12, v2, v[14:15]
	v_mul_lo_u32 v9, v9, v2
	v_mul_lo_u32 v0, v12, v0
	v_ashrrev_i32_e32 v5, 31, v4
	v_mov_b32_e32 v3, v16
	v_add_co_u32_e64 v8, vcc, 0, 0
	v_add3_u32 v11, v9, v11, v0
	v_mul_lo_u32 v0, v12, v2
	v_addc_co_u32_e32 v3, vcc, 1, v3, vcc
	v_add_lshl_u32 v9, v14, v0, 3
	v_lshlrev_b64 v[4:5], 4, v[4:5]
	v_accvgpr_read_b32 v0, a45
	v_add_co_u32_e32 v18, vcc, v0, v4
	v_accvgpr_read_b32 v0, a46
	v_addc_co_u32_e32 v19, vcc, v0, v5, vcc
	s_mov_b64 s[46:47], 0
	v_mov_b32_e32 v21, v46
	v_accvgpr_read_b32 v0, a2
	v_accvgpr_read_b32 v12, a44
	s_branch .LBB4_67
.LBB4_66:                               ;   in Loop: Header=BB4_67 Depth=2
	s_or_b64 exec, exec, s[18:19]
	v_lshlrev_b32_e32 v5, 8, v23
	v_and_b32_e32 v2, 0xff, v26
	v_perm_b32 v5, v5, v22, s71
	v_lshlrev_b32_e32 v22, 8, v29
	v_lshlrev_b32_e32 v2, 16, v2
	v_perm_b32 v22, v22, v28, s71
	v_add_co_u32_e32 v10, vcc, v10, v56
	v_lshl_or_b32 v2, v27, 24, v2
	v_lshlrev_b32_e32 v4, 24, v4
	v_lshl_or_b32 v22, v31, 16, v22
	v_sub_u32_e32 v21, v21, v56
	v_addc_co_u32_e32 v11, vcc, v11, v57, vcc
	v_or3_b32 v2, v2, v5, v8
	v_or3_b32 v4, v4, v22, v8
	v_mov_b32_e32 v5, v3
	v_cmp_gt_i32_e32 vcc, 1, v21
	global_store_dwordx4 v[18:19], v[2:5], off
	s_or_b64 s[46:47], vcc, s[46:47]
	v_add_co_u32_e32 v18, vcc, v18, v58
	v_add_u32_e32 v0, v0, v20
	v_add_u32_e32 v9, v9, v12
	v_addc_co_u32_e32 v19, vcc, v19, v59, vcc
	s_andn2_b64 exec, exec, s[46:47]
	s_cbranch_execz .LBB4_231
.LBB4_67:                               ;   Parent Loop BB4_29 Depth=1
                                        ; =>  This Inner Loop Header: Depth=2
	v_and_b32_e32 v4, -4, v10
	v_mov_b32_e32 v5, v11
	global_load_dword v22, v[4:5], off glc slc
	v_min_u32_e32 v23, 8, v21
	v_and_b32_e32 v26, 3, v10
	v_add_co_u32_e32 v26, vcc, v26, v23
	v_addc_co_u32_e64 v27, s[18:19], 0, 0, vcc
	v_mov_b32_e32 v2, 0
	v_cmp_lt_u64_e32 vcc, 4, v[26:27]
	v_mov_b32_e32 v28, 0
	s_and_saveexec_b64 s[18:19], vcc
	s_cbranch_execz .LBB4_69
; %bb.68:                               ;   in Loop: Header=BB4_67 Depth=2
	global_load_dword v28, v[4:5], off offset:4 glc slc
.LBB4_69:                               ;   in Loop: Header=BB4_67 Depth=2
	s_or_b64 exec, exec, s[18:19]
	v_cmp_lt_u64_e32 vcc, 8, v[26:27]
	v_mov_b32_e32 v29, 0
	s_and_saveexec_b64 s[18:19], vcc
	s_cbranch_execz .LBB4_71
; %bb.70:                               ;   in Loop: Header=BB4_67 Depth=2
	global_load_dword v29, v[4:5], off offset:8 glc slc
.LBB4_71:                               ;   in Loop: Header=BB4_67 Depth=2
	s_or_b64 exec, exec, s[18:19]
	s_waitcnt vmcnt(0)
	v_alignbit_b32 v54, v28, v22, v9
	v_cmp_ne_u16_sdwa vcc, v54, v55 src0_sel:BYTE_0 src1_sel:DWORD
	s_and_saveexec_b64 s[18:19], vcc
	s_cbranch_execz .LBB4_79
; %bb.72:                               ;   in Loop: Header=BB4_67 Depth=2
	v_cmp_ne_u16_sdwa vcc, sext(v54), s63 src0_sel:BYTE_0 src1_sel:DWORD
	v_bfrev_b32_e32 v2, 1
	s_and_saveexec_b64 s[48:49], vcc
	s_cbranch_execz .LBB4_78
; %bb.73:                               ;   in Loop: Header=BB4_67 Depth=2
	v_and_b32_e32 v2, 0x7c, v54
	v_and_b32_e32 v4, 3, v54
	v_cmp_ne_u32_e32 vcc, s64, v2
                                        ; implicit-def: $vgpr2
	s_and_saveexec_b64 s[50:51], vcc
	s_xor_b64 s[50:51], exec, s[50:51]
	s_cbranch_execz .LBB4_75
; %bb.74:                               ;   in Loop: Header=BB4_67 Depth=2
	v_ffbh_u32_e32 v5, v4
	v_bfe_u32 v2, v54, 2, 5
	v_min_u32_e32 v5, 32, v5
	v_subrev_u32_e32 v22, 29, v5
	v_sub_u32_e32 v5, 30, v5
	v_cmp_eq_u32_e32 vcc, 0, v2
	v_lshlrev_b64 v[22:23], v22, v[54:55]
	v_cndmask_b32_e32 v2, v2, v5, vcc
	v_and_b32_e32 v22, 3, v22
	v_lshlrev_b32_e32 v5, 24, v54
	v_lshl_add_u32 v2, v2, 23, v7
	v_cndmask_b32_e32 v4, v4, v22, vcc
	v_and_or_b32 v2, v5, s65, v2
	v_lshl_or_b32 v2, v4, 21, v2
                                        ; implicit-def: $vgpr4
.LBB4_75:                               ;   in Loop: Header=BB4_67 Depth=2
	s_andn2_saveexec_b64 s[50:51], s[50:51]
; %bb.76:                               ;   in Loop: Header=BB4_67 Depth=2
	v_cmp_gt_i16_sdwa vcc, sext(v54), v47 src0_sel:BYTE_0 src1_sel:DWORD
	v_cndmask_b32_e32 v2, v24, v25, vcc
	v_cmp_eq_u32_e32 vcc, 0, v4
	v_cndmask_b32_e32 v2, v6, v2, vcc
; %bb.77:                               ;   in Loop: Header=BB4_67 Depth=2
	s_or_b64 exec, exec, s[50:51]
.LBB4_78:                               ;   in Loop: Header=BB4_67 Depth=2
	s_or_b64 exec, exec, s[48:49]
.LBB4_79:                               ;   in Loop: Header=BB4_67 Depth=2
	s_or_b64 exec, exec, s[18:19]
	v_mul_f32_e32 v23, v62, v2
	v_and_b32_sdwa v2, v23, s66 dst_sel:DWORD dst_unused:UNUSED_PAD src0_sel:BYTE_3 src1_sel:DWORD
	v_and_b32_e32 v26, 0x7f800000, v23
	v_mov_b32_e32 v27, v55
	v_and_b32_e32 v4, 0x7fffff, v23
	v_mov_b32_e32 v5, v55
	v_or_b32_e32 v22, 0x7b, v2
	v_cmp_ne_u64_e32 vcc, s[38:39], v[26:27]
	s_and_saveexec_b64 s[18:19], vcc
	s_xor_b64 s[48:49], exec, s[18:19]
	s_cbranch_execz .LBB4_89
; %bb.80:                               ;   in Loop: Header=BB4_67 Depth=2
	v_and_b32_e32 v26, 0x7fffffff, v23
	v_mov_b32_e32 v27, v55
	v_cmp_gt_u64_e32 vcc, s[40:41], v[26:27]
	s_and_saveexec_b64 s[50:51], vcc
	s_cbranch_execz .LBB4_88
; %bb.81:                               ;   in Loop: Header=BB4_67 Depth=2
	v_cmp_ne_u32_e32 vcc, 0, v23
	v_mov_b32_e32 v22, 0
	s_and_saveexec_b64 s[52:53], vcc
	s_cbranch_execz .LBB4_87
; %bb.82:                               ;   in Loop: Header=BB4_67 Depth=2
	v_bfe_u32 v22, v23, 23, 8
	v_sub_u32_e32 v26, 0x71, v22
	v_cmp_gt_u32_e32 vcc, s67, v22
	v_cndmask_b32_e32 v26, 0, v26, vcc
	v_cmp_eq_u32_e32 vcc, 0, v22
	v_cndmask_b32_e32 v26, v26, v49, vcc
	v_add_u32_e32 v23, 0xffffff81, v22
	v_add_u32_e32 v22, 21, v26
	v_or_b32_e32 v27, 0x800000, v4
	v_cndmask_b32_e32 v31, v23, v48, vcc
	v_lshlrev_b64 v[22:23], v22, -1
	v_cndmask_b32_e32 v4, v27, v4, vcc
	v_not_b32_e32 v22, v22
	v_and_b32_e32 v32, v4, v22
	v_add_u32_e32 v22, 20, v26
	v_lshrrev_b64 v[4:5], v26, v[4:5]
	v_not_b32_e32 v23, v23
	v_lshlrev_b64 v[36:37], v22, 1
	v_lshrrev_b32_e32 v22, 23, v4
	v_and_b32_e32 v33, 0, v23
	v_add3_u32 v26, v26, v31, v22
	v_bfe_u32 v22, v4, 21, 1
	v_add_u32_e32 v22, -1, v22
	v_cmp_eq_u64_e32 vcc, v[32:33], v[36:37]
	v_cndmask_b32_e32 v22, 0, v22, vcc
	v_add_u32_e32 v22, v22, v4
	v_and_b32_e32 v22, 0x1fffff, v22
	v_add_co_u32_e32 v4, vcc, v22, v4
	v_add_u32_e32 v23, 14, v26
	v_addc_co_u32_e32 v5, vcc, 0, v5, vcc
	v_cmp_ne_u32_e32 vcc, 0, v23
                                        ; implicit-def: $vgpr22
	s_and_saveexec_b64 s[18:19], vcc
	s_xor_b64 s[18:19], exec, s[18:19]
; %bb.83:                               ;   in Loop: Header=BB4_67 Depth=2
	v_add_u32_e32 v22, 15, v26
	v_cmp_lt_u64_e32 vcc, s[42:43], v[4:5]
	v_cndmask_b32_e32 v22, v23, v22, vcc
	v_cndmask_b32_e64 v23, 0, 1, vcc
	v_lshrrev_b64 v[4:5], v23, v[4:5]
; %bb.84:                               ;   in Loop: Header=BB4_67 Depth=2
	s_andn2_saveexec_b64 s[18:19], s[18:19]
; %bb.85:                               ;   in Loop: Header=BB4_67 Depth=2
	v_bfe_u32 v22, v4, 23, 1
; %bb.86:                               ;   in Loop: Header=BB4_67 Depth=2
	s_or_b64 exec, exec, s[18:19]
	v_lshrrev_b64 v[4:5], 21, v[4:5]
	v_cmp_gt_i32_e32 vcc, 32, v22
	v_cndmask_b32_e32 v5, 0, v5, vcc
	v_cndmask_b32_e32 v4, 3, v4, vcc
	v_cmp_eq_u64_e64 s[18:19], 0, v[4:5]
	v_min_i32_e32 v5, 31, v22
	v_cmp_eq_u32_e32 vcc, 0, v22
	v_lshlrev_b32_e32 v5, 2, v5
	v_and_or_b32 v4, v4, 3, v5
	s_and_b64 s[18:19], vcc, s[18:19]
	v_cndmask_b32_e64 v4, v4, 0, s[18:19]
	v_or_b32_e32 v22, v4, v2
.LBB4_87:                               ;   in Loop: Header=BB4_67 Depth=2
	s_or_b64 exec, exec, s[52:53]
.LBB4_88:                               ;   in Loop: Header=BB4_67 Depth=2
	s_or_b64 exec, exec, s[50:51]
                                        ; implicit-def: $vgpr23
                                        ; implicit-def: $vgpr4_vgpr5
.LBB4_89:                               ;   in Loop: Header=BB4_67 Depth=2
	s_andn2_saveexec_b64 s[18:19], s[48:49]
; %bb.90:                               ;   in Loop: Header=BB4_67 Depth=2
	v_or_b32_sdwa v2, v23, s68 dst_sel:DWORD dst_unused:UNUSED_PAD src0_sel:BYTE_3 src1_sel:DWORD
	v_cmp_eq_u64_e32 vcc, 0, v[4:5]
	v_cndmask_b32_e32 v22, v2, v22, vcc
; %bb.91:                               ;   in Loop: Header=BB4_67 Depth=2
	s_or_b64 exec, exec, s[18:19]
	v_lshrrev_b16_e32 v4, 8, v54
	v_cmp_ne_u16_e32 vcc, 0, v4
	v_mov_b32_e32 v2, 0
	s_and_saveexec_b64 s[18:19], vcc
	s_cbranch_execz .LBB4_99
; %bb.92:                               ;   in Loop: Header=BB4_67 Depth=2
	v_cmp_ne_u16_e32 vcc, s66, v4
	v_bfrev_b32_e32 v2, 1
	s_and_saveexec_b64 s[48:49], vcc
	s_cbranch_execz .LBB4_98
; %bb.93:                               ;   in Loop: Header=BB4_67 Depth=2
	v_and_b32_e32 v2, 0x7c, v4
	v_and_b32_e32 v23, 3, v4
	v_cmp_ne_u32_e32 vcc, s64, v2
                                        ; implicit-def: $vgpr2
	s_and_saveexec_b64 s[50:51], vcc
	s_xor_b64 s[50:51], exec, s[50:51]
	s_cbranch_execz .LBB4_95
; %bb.94:                               ;   in Loop: Header=BB4_67 Depth=2
	v_ffbh_u32_e32 v26, v23
	v_min_u32_e32 v26, 32, v26
	v_mov_b32_e32 v5, v55
	v_subrev_u32_e32 v27, 29, v26
	v_bfe_u32 v2, v4, 2, 5
	v_lshlrev_b64 v[4:5], v27, v[4:5]
	v_sub_u32_e32 v5, 30, v26
	v_cmp_eq_u32_e32 vcc, 0, v2
	v_cndmask_b32_e32 v2, v2, v5, vcc
	v_and_b32_e32 v4, 3, v4
	v_lshlrev_b32_e32 v5, 16, v54
	v_lshl_add_u32 v2, v2, 23, v7
	v_cndmask_b32_e32 v4, v23, v4, vcc
	v_and_or_b32 v2, v5, s65, v2
	v_lshl_or_b32 v2, v4, 21, v2
                                        ; implicit-def: $vgpr23
.LBB4_95:                               ;   in Loop: Header=BB4_67 Depth=2
	s_andn2_saveexec_b64 s[50:51], s[50:51]
; %bb.96:                               ;   in Loop: Header=BB4_67 Depth=2
	v_cmp_lt_i16_e32 vcc, -1, v54
	v_cndmask_b32_e32 v2, v24, v25, vcc
	v_cmp_eq_u32_e32 vcc, 0, v23
	v_cndmask_b32_e32 v2, v6, v2, vcc
; %bb.97:                               ;   in Loop: Header=BB4_67 Depth=2
	s_or_b64 exec, exec, s[50:51]
.LBB4_98:                               ;   in Loop: Header=BB4_67 Depth=2
	s_or_b64 exec, exec, s[48:49]
.LBB4_99:                               ;   in Loop: Header=BB4_67 Depth=2
	s_or_b64 exec, exec, s[18:19]
	v_mul_f32_e32 v26, v62, v2
	v_and_b32_sdwa v2, v26, s66 dst_sel:DWORD dst_unused:UNUSED_PAD src0_sel:BYTE_3 src1_sel:DWORD
	v_and_b32_e32 v32, 0x7f800000, v26
	v_mov_b32_e32 v33, v55
	v_and_b32_e32 v4, 0x7fffff, v26
	v_mov_b32_e32 v5, v55
	v_or_b32_e32 v23, 0x7b, v2
	v_cmp_ne_u64_e32 vcc, s[38:39], v[32:33]
	s_and_saveexec_b64 s[18:19], vcc
	s_xor_b64 s[48:49], exec, s[18:19]
	s_cbranch_execz .LBB4_109
; %bb.100:                              ;   in Loop: Header=BB4_67 Depth=2
	v_and_b32_e32 v32, 0x7fffffff, v26
	v_mov_b32_e32 v33, v55
	v_cmp_gt_u64_e32 vcc, s[40:41], v[32:33]
	s_and_saveexec_b64 s[50:51], vcc
	s_cbranch_execz .LBB4_108
; %bb.101:                              ;   in Loop: Header=BB4_67 Depth=2
	v_cmp_ne_u32_e32 vcc, 0, v26
	v_mov_b32_e32 v23, 0
	s_and_saveexec_b64 s[52:53], vcc
	s_cbranch_execz .LBB4_107
; %bb.102:                              ;   in Loop: Header=BB4_67 Depth=2
	v_bfe_u32 v23, v26, 23, 8
	v_sub_u32_e32 v27, 0x71, v23
	v_cmp_gt_u32_e32 vcc, s67, v23
	v_cndmask_b32_e32 v27, 0, v27, vcc
	v_cmp_eq_u32_e32 vcc, 0, v23
	v_add_u32_e32 v26, 0xffffff81, v23
	v_cndmask_b32_e32 v38, v27, v49, vcc
	v_cndmask_b32_e32 v23, v26, v48, vcc
	v_add_u32_e32 v26, 21, v38
	v_or_b32_e32 v31, 0x800000, v4
	v_lshlrev_b64 v[26:27], v26, -1
	v_cndmask_b32_e32 v4, v31, v4, vcc
	v_not_b32_e32 v26, v26
	v_and_b32_e32 v32, v4, v26
	v_add_u32_e32 v26, 20, v38
	v_lshrrev_b64 v[4:5], v38, v[4:5]
	v_not_b32_e32 v27, v27
	v_lshlrev_b64 v[36:37], v26, 1
	v_lshrrev_b32_e32 v26, 23, v4
	v_and_b32_e32 v33, 0, v27
	v_add3_u32 v27, v38, v23, v26
	v_bfe_u32 v23, v4, 21, 1
	v_add_u32_e32 v23, -1, v23
	v_cmp_eq_u64_e32 vcc, v[32:33], v[36:37]
	v_cndmask_b32_e32 v23, 0, v23, vcc
	v_add_u32_e32 v23, v23, v4
	v_and_b32_e32 v23, 0x1fffff, v23
	v_add_co_u32_e32 v4, vcc, v23, v4
	v_add_u32_e32 v26, 14, v27
	v_addc_co_u32_e32 v5, vcc, 0, v5, vcc
	v_cmp_ne_u32_e32 vcc, 0, v26
                                        ; implicit-def: $vgpr23
	s_and_saveexec_b64 s[18:19], vcc
	s_xor_b64 s[18:19], exec, s[18:19]
; %bb.103:                              ;   in Loop: Header=BB4_67 Depth=2
	v_add_u32_e32 v23, 15, v27
	v_cmp_lt_u64_e32 vcc, s[42:43], v[4:5]
	v_cndmask_b32_e32 v23, v26, v23, vcc
	v_cndmask_b32_e64 v26, 0, 1, vcc
	v_lshrrev_b64 v[4:5], v26, v[4:5]
; %bb.104:                              ;   in Loop: Header=BB4_67 Depth=2
	s_andn2_saveexec_b64 s[18:19], s[18:19]
; %bb.105:                              ;   in Loop: Header=BB4_67 Depth=2
	v_bfe_u32 v23, v4, 23, 1
; %bb.106:                              ;   in Loop: Header=BB4_67 Depth=2
	s_or_b64 exec, exec, s[18:19]
	v_lshrrev_b64 v[4:5], 21, v[4:5]
	v_cmp_gt_i32_e32 vcc, 32, v23
	v_cndmask_b32_e32 v5, 0, v5, vcc
	v_cndmask_b32_e32 v4, 3, v4, vcc
	v_cmp_eq_u64_e64 s[18:19], 0, v[4:5]
	v_min_i32_e32 v5, 31, v23
	v_cmp_eq_u32_e32 vcc, 0, v23
	v_lshlrev_b32_e32 v5, 2, v5
	v_and_or_b32 v4, v4, 3, v5
	s_and_b64 s[18:19], vcc, s[18:19]
	v_cndmask_b32_e64 v4, v4, 0, s[18:19]
	v_or_b32_e32 v23, v4, v2
.LBB4_107:                              ;   in Loop: Header=BB4_67 Depth=2
	s_or_b64 exec, exec, s[52:53]
.LBB4_108:                              ;   in Loop: Header=BB4_67 Depth=2
	s_or_b64 exec, exec, s[50:51]
                                        ; implicit-def: $vgpr26
                                        ; implicit-def: $vgpr4_vgpr5
.LBB4_109:                              ;   in Loop: Header=BB4_67 Depth=2
	s_andn2_saveexec_b64 s[18:19], s[48:49]
; %bb.110:                              ;   in Loop: Header=BB4_67 Depth=2
	v_or_b32_sdwa v2, v26, s68 dst_sel:DWORD dst_unused:UNUSED_PAD src0_sel:BYTE_3 src1_sel:DWORD
	v_cmp_eq_u64_e32 vcc, 0, v[4:5]
	v_cndmask_b32_e32 v23, v2, v23, vcc
; %bb.111:                              ;   in Loop: Header=BB4_67 Depth=2
	s_or_b64 exec, exec, s[18:19]
	v_and_b32_sdwa v5, v54, s62 dst_sel:DWORD dst_unused:UNUSED_PAD src0_sel:WORD_1 src1_sel:DWORD
	v_lshrrev_b32_e32 v4, 16, v54
	v_cmp_ne_u16_e32 vcc, 0, v5
	v_mov_b32_e32 v2, 0
	s_and_saveexec_b64 s[18:19], vcc
	s_cbranch_execz .LBB4_119
; %bb.112:                              ;   in Loop: Header=BB4_67 Depth=2
	v_cmp_ne_u16_e32 vcc, s66, v5
	v_bfrev_b32_e32 v2, 1
	s_and_saveexec_b64 s[48:49], vcc
	s_cbranch_execz .LBB4_118
; %bb.113:                              ;   in Loop: Header=BB4_67 Depth=2
	v_and_b32_e32 v2, 0x7c0000, v54
	v_bfe_u32 v5, v54, 16, 2
	v_cmp_ne_u32_e32 vcc, s69, v2
                                        ; implicit-def: $vgpr2
	s_and_saveexec_b64 s[50:51], vcc
	s_xor_b64 s[50:51], exec, s[50:51]
	s_cbranch_execz .LBB4_115
; %bb.114:                              ;   in Loop: Header=BB4_67 Depth=2
	v_ffbh_u32_e32 v26, v5
	v_min_u32_e32 v31, 32, v26
	v_lshrrev_b32_e32 v2, 16, v54
	v_bfe_u32 v4, v54, 18, 5
	v_subrev_u32_e32 v26, 29, v31
	v_lshlrev_b64 v[26:27], v26, v[2:3]
	v_sub_u32_e32 v2, 30, v31
	v_cmp_eq_u32_e32 vcc, 0, v4
	v_and_b32_e32 v26, 3, v26
	v_cndmask_b32_e32 v2, v4, v2, vcc
	v_cndmask_b32_e32 v4, v5, v26, vcc
	v_lshlrev_b32_e32 v5, 8, v54
	v_lshl_add_u32 v2, v2, 23, v7
	v_and_or_b32 v2, v5, s65, v2
	v_lshl_or_b32 v2, v4, 21, v2
                                        ; implicit-def: $vgpr5
                                        ; implicit-def: $vgpr4
.LBB4_115:                              ;   in Loop: Header=BB4_67 Depth=2
	s_andn2_saveexec_b64 s[50:51], s[50:51]
; %bb.116:                              ;   in Loop: Header=BB4_67 Depth=2
	v_cmp_gt_i16_sdwa vcc, sext(v4), v47 src0_sel:BYTE_0 src1_sel:DWORD
	v_cndmask_b32_e32 v2, v24, v25, vcc
	v_cmp_eq_u32_e32 vcc, 0, v5
	v_cndmask_b32_e32 v2, v6, v2, vcc
; %bb.117:                              ;   in Loop: Header=BB4_67 Depth=2
	s_or_b64 exec, exec, s[50:51]
.LBB4_118:                              ;   in Loop: Header=BB4_67 Depth=2
	s_or_b64 exec, exec, s[48:49]
.LBB4_119:                              ;   in Loop: Header=BB4_67 Depth=2
	s_or_b64 exec, exec, s[18:19]
	v_mul_f32_e32 v27, v62, v2
	v_and_b32_sdwa v2, v27, s66 dst_sel:DWORD dst_unused:UNUSED_PAD src0_sel:BYTE_3 src1_sel:DWORD
	v_and_b32_e32 v32, 0x7f800000, v27
	v_mov_b32_e32 v33, v55
	v_and_b32_e32 v4, 0x7fffff, v27
	v_mov_b32_e32 v5, v55
	v_or_b32_e32 v26, 0x7b, v2
	v_cmp_ne_u64_e32 vcc, s[38:39], v[32:33]
	s_and_saveexec_b64 s[18:19], vcc
	s_xor_b64 s[48:49], exec, s[18:19]
	s_cbranch_execz .LBB4_129
; %bb.120:                              ;   in Loop: Header=BB4_67 Depth=2
	v_and_b32_e32 v32, 0x7fffffff, v27
	v_mov_b32_e32 v33, v55
	v_cmp_gt_u64_e32 vcc, s[40:41], v[32:33]
	s_and_saveexec_b64 s[50:51], vcc
	s_cbranch_execz .LBB4_128
; %bb.121:                              ;   in Loop: Header=BB4_67 Depth=2
	v_cmp_ne_u32_e32 vcc, 0, v27
	v_mov_b32_e32 v26, 0
	s_and_saveexec_b64 s[52:53], vcc
	s_cbranch_execz .LBB4_127
; %bb.122:                              ;   in Loop: Header=BB4_67 Depth=2
	v_bfe_u32 v26, v27, 23, 8
	v_sub_u32_e32 v31, 0x71, v26
	v_cmp_gt_u32_e32 vcc, s67, v26
	v_cndmask_b32_e32 v31, 0, v31, vcc
	v_cmp_eq_u32_e32 vcc, 0, v26
	v_cndmask_b32_e32 v31, v31, v49, vcc
	v_add_u32_e32 v27, 0xffffff81, v26
	v_add_u32_e32 v26, 21, v31
	v_or_b32_e32 v32, 0x800000, v4
	v_cndmask_b32_e32 v38, v27, v48, vcc
	v_lshlrev_b64 v[26:27], v26, -1
	v_cndmask_b32_e32 v4, v32, v4, vcc
	v_not_b32_e32 v26, v26
	v_and_b32_e32 v32, v4, v26
	v_add_u32_e32 v26, 20, v31
	v_lshrrev_b64 v[4:5], v31, v[4:5]
	v_not_b32_e32 v27, v27
	v_lshlrev_b64 v[36:37], v26, 1
	v_lshrrev_b32_e32 v26, 23, v4
	v_and_b32_e32 v33, 0, v27
	v_add3_u32 v31, v31, v38, v26
	v_bfe_u32 v26, v4, 21, 1
	v_add_u32_e32 v26, -1, v26
	v_cmp_eq_u64_e32 vcc, v[32:33], v[36:37]
	v_cndmask_b32_e32 v26, 0, v26, vcc
	v_add_u32_e32 v26, v26, v4
	v_and_b32_e32 v26, 0x1fffff, v26
	v_add_co_u32_e32 v4, vcc, v26, v4
	v_add_u32_e32 v27, 14, v31
	v_addc_co_u32_e32 v5, vcc, 0, v5, vcc
	v_cmp_ne_u32_e32 vcc, 0, v27
                                        ; implicit-def: $vgpr26
	s_and_saveexec_b64 s[18:19], vcc
	s_xor_b64 s[18:19], exec, s[18:19]
; %bb.123:                              ;   in Loop: Header=BB4_67 Depth=2
	v_add_u32_e32 v26, 15, v31
	v_cmp_lt_u64_e32 vcc, s[42:43], v[4:5]
	v_cndmask_b32_e32 v26, v27, v26, vcc
	v_cndmask_b32_e64 v27, 0, 1, vcc
	v_lshrrev_b64 v[4:5], v27, v[4:5]
; %bb.124:                              ;   in Loop: Header=BB4_67 Depth=2
	s_andn2_saveexec_b64 s[18:19], s[18:19]
; %bb.125:                              ;   in Loop: Header=BB4_67 Depth=2
	v_bfe_u32 v26, v4, 23, 1
; %bb.126:                              ;   in Loop: Header=BB4_67 Depth=2
	s_or_b64 exec, exec, s[18:19]
	v_lshrrev_b64 v[4:5], 21, v[4:5]
	v_cmp_gt_i32_e32 vcc, 32, v26
	v_cndmask_b32_e32 v5, 0, v5, vcc
	v_cndmask_b32_e32 v4, 3, v4, vcc
	v_cmp_eq_u64_e64 s[18:19], 0, v[4:5]
	v_min_i32_e32 v5, 31, v26
	v_cmp_eq_u32_e32 vcc, 0, v26
	v_lshlrev_b32_e32 v5, 2, v5
	v_and_or_b32 v4, v4, 3, v5
	s_and_b64 s[18:19], vcc, s[18:19]
	v_cndmask_b32_e64 v4, v4, 0, s[18:19]
	v_or_b32_e32 v26, v4, v2
.LBB4_127:                              ;   in Loop: Header=BB4_67 Depth=2
	s_or_b64 exec, exec, s[52:53]
.LBB4_128:                              ;   in Loop: Header=BB4_67 Depth=2
	s_or_b64 exec, exec, s[50:51]
                                        ; implicit-def: $vgpr27
                                        ; implicit-def: $vgpr4_vgpr5
.LBB4_129:                              ;   in Loop: Header=BB4_67 Depth=2
	s_andn2_saveexec_b64 s[18:19], s[48:49]
; %bb.130:                              ;   in Loop: Header=BB4_67 Depth=2
	v_or_b32_sdwa v2, v27, s68 dst_sel:DWORD dst_unused:UNUSED_PAD src0_sel:BYTE_3 src1_sel:DWORD
	v_cmp_eq_u64_e32 vcc, 0, v[4:5]
	v_cndmask_b32_e32 v26, v2, v26, vcc
; %bb.131:                              ;   in Loop: Header=BB4_67 Depth=2
	s_or_b64 exec, exec, s[18:19]
	v_cmp_lt_u32_e32 vcc, s37, v54
	v_mov_b32_e32 v4, 0
	s_and_saveexec_b64 s[18:19], vcc
	s_cbranch_execz .LBB4_139
; %bb.132:                              ;   in Loop: Header=BB4_67 Depth=2
	v_lshrrev_b32_e32 v2, 24, v54
	v_cmp_ne_u32_e32 vcc, s66, v2
	v_bfrev_b32_e32 v4, 1
	s_and_saveexec_b64 s[48:49], vcc
	s_cbranch_execz .LBB4_138
; %bb.133:                              ;   in Loop: Header=BB4_67 Depth=2
	v_and_b32_e32 v4, 0x7c000000, v54
	v_bfe_u32 v5, v54, 24, 2
	v_cmp_ne_u32_e32 vcc, s70, v4
                                        ; implicit-def: $vgpr4
	s_and_saveexec_b64 s[50:51], vcc
	s_xor_b64 s[50:51], exec, s[50:51]
	s_cbranch_execz .LBB4_135
; %bb.134:                              ;   in Loop: Header=BB4_67 Depth=2
	v_ffbh_u32_e32 v27, v5
	v_min_u32_e32 v27, 32, v27
	v_bfe_u32 v4, v54, 26, 5
	v_subrev_u32_e32 v31, 29, v27
	v_lshlrev_b64 v[32:33], v31, v[2:3]
	v_sub_u32_e32 v2, 30, v27
	v_cmp_eq_u32_e32 vcc, 0, v4
	v_cndmask_b32_e32 v2, v4, v2, vcc
	v_and_b32_e32 v27, 3, v32
	v_lshl_add_u32 v2, v2, 23, v7
	v_cndmask_b32_e32 v4, v5, v27, vcc
	v_and_or_b32 v2, v54, s65, v2
	v_lshl_or_b32 v4, v4, 21, v2
                                        ; implicit-def: $vgpr5
.LBB4_135:                              ;   in Loop: Header=BB4_67 Depth=2
	s_andn2_saveexec_b64 s[50:51], s[50:51]
; %bb.136:                              ;   in Loop: Header=BB4_67 Depth=2
	v_cmp_lt_i32_e32 vcc, -1, v54
	v_cndmask_b32_e32 v2, v24, v25, vcc
	v_cmp_eq_u32_e32 vcc, 0, v5
	v_cndmask_b32_e32 v4, v6, v2, vcc
; %bb.137:                              ;   in Loop: Header=BB4_67 Depth=2
	s_or_b64 exec, exec, s[50:51]
.LBB4_138:                              ;   in Loop: Header=BB4_67 Depth=2
	s_or_b64 exec, exec, s[48:49]
.LBB4_139:                              ;   in Loop: Header=BB4_67 Depth=2
	s_or_b64 exec, exec, s[18:19]
	v_mul_f32_e32 v4, v62, v4
	v_and_b32_sdwa v2, v4, s66 dst_sel:DWORD dst_unused:UNUSED_PAD src0_sel:BYTE_3 src1_sel:DWORD
	v_and_b32_e32 v32, 0x7f800000, v4
	v_mov_b32_e32 v33, v55
	v_and_b32_e32 v54, 0x7fffff, v4
	v_or_b32_e32 v27, 0x7b, v2
	v_cmp_ne_u64_e32 vcc, s[38:39], v[32:33]
	s_and_saveexec_b64 s[18:19], vcc
	s_xor_b64 s[48:49], exec, s[18:19]
	s_cbranch_execz .LBB4_149
; %bb.140:                              ;   in Loop: Header=BB4_67 Depth=2
	v_and_b32_e32 v32, 0x7fffffff, v4
	v_mov_b32_e32 v33, v55
	v_cmp_gt_u64_e32 vcc, s[40:41], v[32:33]
	s_and_saveexec_b64 s[50:51], vcc
	s_cbranch_execz .LBB4_148
; %bb.141:                              ;   in Loop: Header=BB4_67 Depth=2
	v_cmp_ne_u32_e32 vcc, 0, v4
	v_mov_b32_e32 v27, 0
	s_and_saveexec_b64 s[52:53], vcc
	s_cbranch_execz .LBB4_147
; %bb.142:                              ;   in Loop: Header=BB4_67 Depth=2
	v_bfe_u32 v4, v4, 23, 8
	v_sub_u32_e32 v27, 0x71, v4
	v_cmp_gt_u32_e32 vcc, s67, v4
	v_cndmask_b32_e32 v27, 0, v27, vcc
	v_cmp_eq_u32_e32 vcc, 0, v4
	v_or_b32_e32 v31, 0x800000, v54
	v_cndmask_b32_e32 v27, v27, v49, vcc
	v_add_u32_e32 v5, 0xffffff81, v4
	v_cndmask_b32_e32 v54, v31, v54, vcc
	v_add_u32_e32 v4, 21, v27
	v_cndmask_b32_e32 v32, v5, v48, vcc
	v_lshlrev_b64 v[4:5], v4, -1
	v_add_u32_e32 v31, 20, v27
	v_lshrrev_b64 v[40:41], v27, v[54:55]
	v_not_b32_e32 v5, v5
	v_not_b32_e32 v4, v4
	v_lshlrev_b64 v[36:37], v31, 1
	v_lshrrev_b32_e32 v31, 23, v40
	v_and_b32_e32 v5, 0, v5
	v_and_b32_e32 v4, v54, v4
	v_add3_u32 v32, v27, v32, v31
	v_bfe_u32 v27, v40, 21, 1
	v_add_u32_e32 v27, -1, v27
	v_cmp_eq_u64_e32 vcc, v[4:5], v[36:37]
	v_cndmask_b32_e32 v4, 0, v27, vcc
	v_add_u32_e32 v4, v4, v40
	v_and_b32_e32 v4, 0x1fffff, v4
	v_add_co_u32_e32 v4, vcc, v4, v40
	v_add_u32_e32 v31, 14, v32
	v_addc_co_u32_e32 v5, vcc, 0, v41, vcc
	v_cmp_ne_u32_e32 vcc, 0, v31
                                        ; implicit-def: $vgpr27
	s_and_saveexec_b64 s[18:19], vcc
	s_xor_b64 s[18:19], exec, s[18:19]
; %bb.143:                              ;   in Loop: Header=BB4_67 Depth=2
	v_add_u32_e32 v27, 15, v32
	v_cmp_lt_u64_e32 vcc, s[42:43], v[4:5]
	v_cndmask_b32_e32 v27, v31, v27, vcc
	v_cndmask_b32_e64 v31, 0, 1, vcc
	v_lshrrev_b64 v[4:5], v31, v[4:5]
; %bb.144:                              ;   in Loop: Header=BB4_67 Depth=2
	s_andn2_saveexec_b64 s[18:19], s[18:19]
; %bb.145:                              ;   in Loop: Header=BB4_67 Depth=2
	v_bfe_u32 v27, v4, 23, 1
; %bb.146:                              ;   in Loop: Header=BB4_67 Depth=2
	s_or_b64 exec, exec, s[18:19]
	v_lshrrev_b64 v[4:5], 21, v[4:5]
	v_cmp_gt_i32_e32 vcc, 32, v27
	v_cndmask_b32_e32 v5, 0, v5, vcc
	v_cndmask_b32_e32 v4, 3, v4, vcc
	v_cmp_eq_u64_e64 s[18:19], 0, v[4:5]
	v_min_i32_e32 v5, 31, v27
	v_cmp_eq_u32_e32 vcc, 0, v27
	v_lshlrev_b32_e32 v5, 2, v5
	v_and_or_b32 v4, v4, 3, v5
	s_and_b64 s[18:19], vcc, s[18:19]
	v_cndmask_b32_e64 v4, v4, 0, s[18:19]
	v_or_b32_e32 v27, v4, v2
.LBB4_147:                              ;   in Loop: Header=BB4_67 Depth=2
	s_or_b64 exec, exec, s[52:53]
.LBB4_148:                              ;   in Loop: Header=BB4_67 Depth=2
	s_or_b64 exec, exec, s[50:51]
                                        ; implicit-def: $vgpr4
.LBB4_149:                              ;   in Loop: Header=BB4_67 Depth=2
	s_andn2_saveexec_b64 s[18:19], s[48:49]
; %bb.150:                              ;   in Loop: Header=BB4_67 Depth=2
	v_or_b32_sdwa v2, v4, s68 dst_sel:DWORD dst_unused:UNUSED_PAD src0_sel:BYTE_3 src1_sel:DWORD
	v_cmp_eq_u64_e32 vcc, 0, v[54:55]
	v_cndmask_b32_e32 v27, v2, v27, vcc
; %bb.151:                              ;   in Loop: Header=BB4_67 Depth=2
	s_or_b64 exec, exec, s[18:19]
	v_alignbit_b32 v54, v29, v28, v9
	v_cmp_ne_u16_sdwa vcc, v54, v55 src0_sel:BYTE_0 src1_sel:DWORD
	v_mov_b32_e32 v2, 0
	s_and_saveexec_b64 s[18:19], vcc
	s_cbranch_execz .LBB4_159
; %bb.152:                              ;   in Loop: Header=BB4_67 Depth=2
	v_cmp_ne_u16_sdwa vcc, sext(v54), s63 src0_sel:BYTE_0 src1_sel:DWORD
	v_bfrev_b32_e32 v2, 1
	s_and_saveexec_b64 s[48:49], vcc
	s_cbranch_execz .LBB4_158
; %bb.153:                              ;   in Loop: Header=BB4_67 Depth=2
	v_and_b32_e32 v2, 0x7c, v54
	v_and_b32_e32 v4, 3, v54
	v_cmp_ne_u32_e32 vcc, s64, v2
                                        ; implicit-def: $vgpr2
	s_and_saveexec_b64 s[50:51], vcc
	s_xor_b64 s[50:51], exec, s[50:51]
	s_cbranch_execz .LBB4_155
; %bb.154:                              ;   in Loop: Header=BB4_67 Depth=2
	v_ffbh_u32_e32 v5, v4
	v_bfe_u32 v2, v54, 2, 5
	v_min_u32_e32 v5, 32, v5
	v_subrev_u32_e32 v28, 29, v5
	v_sub_u32_e32 v5, 30, v5
	v_cmp_eq_u32_e32 vcc, 0, v2
	v_lshlrev_b64 v[28:29], v28, v[54:55]
	v_cndmask_b32_e32 v2, v2, v5, vcc
	v_and_b32_e32 v28, 3, v28
	v_lshlrev_b32_e32 v5, 24, v54
	v_lshl_add_u32 v2, v2, 23, v7
	v_cndmask_b32_e32 v4, v4, v28, vcc
	v_and_or_b32 v2, v5, s65, v2
	v_lshl_or_b32 v2, v4, 21, v2
                                        ; implicit-def: $vgpr4
.LBB4_155:                              ;   in Loop: Header=BB4_67 Depth=2
	s_andn2_saveexec_b64 s[50:51], s[50:51]
; %bb.156:                              ;   in Loop: Header=BB4_67 Depth=2
	v_cmp_gt_i16_sdwa vcc, sext(v54), v47 src0_sel:BYTE_0 src1_sel:DWORD
	v_cndmask_b32_e32 v2, v24, v25, vcc
	v_cmp_eq_u32_e32 vcc, 0, v4
	v_cndmask_b32_e32 v2, v6, v2, vcc
; %bb.157:                              ;   in Loop: Header=BB4_67 Depth=2
	s_or_b64 exec, exec, s[50:51]
.LBB4_158:                              ;   in Loop: Header=BB4_67 Depth=2
	s_or_b64 exec, exec, s[48:49]
.LBB4_159:                              ;   in Loop: Header=BB4_67 Depth=2
	s_or_b64 exec, exec, s[18:19]
	v_mul_f32_e32 v29, v62, v2
	v_and_b32_sdwa v2, v29, s66 dst_sel:DWORD dst_unused:UNUSED_PAD src0_sel:BYTE_3 src1_sel:DWORD
	v_and_b32_e32 v32, 0x7f800000, v29
	v_mov_b32_e32 v33, v55
	v_and_b32_e32 v4, 0x7fffff, v29
	v_mov_b32_e32 v5, v55
	v_or_b32_e32 v28, 0x7b, v2
	v_cmp_ne_u64_e32 vcc, s[38:39], v[32:33]
	s_and_saveexec_b64 s[18:19], vcc
	s_xor_b64 s[48:49], exec, s[18:19]
	s_cbranch_execz .LBB4_169
; %bb.160:                              ;   in Loop: Header=BB4_67 Depth=2
	v_and_b32_e32 v32, 0x7fffffff, v29
	v_mov_b32_e32 v33, v55
	v_cmp_gt_u64_e32 vcc, s[40:41], v[32:33]
	s_and_saveexec_b64 s[50:51], vcc
	s_cbranch_execz .LBB4_168
; %bb.161:                              ;   in Loop: Header=BB4_67 Depth=2
	v_cmp_ne_u32_e32 vcc, 0, v29
	v_mov_b32_e32 v28, 0
	s_and_saveexec_b64 s[52:53], vcc
	s_cbranch_execz .LBB4_167
; %bb.162:                              ;   in Loop: Header=BB4_67 Depth=2
	v_bfe_u32 v28, v29, 23, 8
	v_sub_u32_e32 v31, 0x71, v28
	v_cmp_gt_u32_e32 vcc, s67, v28
	v_cndmask_b32_e32 v31, 0, v31, vcc
	v_cmp_eq_u32_e32 vcc, 0, v28
	v_cndmask_b32_e32 v31, v31, v49, vcc
	v_add_u32_e32 v29, 0xffffff81, v28
	v_add_u32_e32 v28, 21, v31
	v_or_b32_e32 v32, 0x800000, v4
	v_cndmask_b32_e32 v38, v29, v48, vcc
	v_lshlrev_b64 v[28:29], v28, -1
	v_cndmask_b32_e32 v4, v32, v4, vcc
	v_not_b32_e32 v28, v28
	v_and_b32_e32 v32, v4, v28
	v_add_u32_e32 v28, 20, v31
	v_lshrrev_b64 v[4:5], v31, v[4:5]
	v_not_b32_e32 v29, v29
	v_lshlrev_b64 v[36:37], v28, 1
	v_lshrrev_b32_e32 v28, 23, v4
	v_and_b32_e32 v33, 0, v29
	v_add3_u32 v31, v31, v38, v28
	v_bfe_u32 v28, v4, 21, 1
	v_add_u32_e32 v28, -1, v28
	v_cmp_eq_u64_e32 vcc, v[32:33], v[36:37]
	v_cndmask_b32_e32 v28, 0, v28, vcc
	v_add_u32_e32 v28, v28, v4
	v_and_b32_e32 v28, 0x1fffff, v28
	v_add_co_u32_e32 v4, vcc, v28, v4
	v_add_u32_e32 v29, 14, v31
	v_addc_co_u32_e32 v5, vcc, 0, v5, vcc
	v_cmp_ne_u32_e32 vcc, 0, v29
                                        ; implicit-def: $vgpr28
	s_and_saveexec_b64 s[18:19], vcc
	s_xor_b64 s[18:19], exec, s[18:19]
; %bb.163:                              ;   in Loop: Header=BB4_67 Depth=2
	v_add_u32_e32 v28, 15, v31
	v_cmp_lt_u64_e32 vcc, s[42:43], v[4:5]
	v_cndmask_b32_e32 v28, v29, v28, vcc
	v_cndmask_b32_e64 v29, 0, 1, vcc
	v_lshrrev_b64 v[4:5], v29, v[4:5]
; %bb.164:                              ;   in Loop: Header=BB4_67 Depth=2
	s_andn2_saveexec_b64 s[18:19], s[18:19]
; %bb.165:                              ;   in Loop: Header=BB4_67 Depth=2
	v_bfe_u32 v28, v4, 23, 1
; %bb.166:                              ;   in Loop: Header=BB4_67 Depth=2
	s_or_b64 exec, exec, s[18:19]
	v_lshrrev_b64 v[4:5], 21, v[4:5]
	v_cmp_gt_i32_e32 vcc, 32, v28
	v_cndmask_b32_e32 v5, 0, v5, vcc
	v_cndmask_b32_e32 v4, 3, v4, vcc
	v_cmp_eq_u64_e64 s[18:19], 0, v[4:5]
	v_min_i32_e32 v5, 31, v28
	v_cmp_eq_u32_e32 vcc, 0, v28
	v_lshlrev_b32_e32 v5, 2, v5
	v_and_or_b32 v4, v4, 3, v5
	s_and_b64 s[18:19], vcc, s[18:19]
	v_cndmask_b32_e64 v4, v4, 0, s[18:19]
	v_or_b32_e32 v28, v4, v2
.LBB4_167:                              ;   in Loop: Header=BB4_67 Depth=2
	s_or_b64 exec, exec, s[52:53]
.LBB4_168:                              ;   in Loop: Header=BB4_67 Depth=2
	s_or_b64 exec, exec, s[50:51]
                                        ; implicit-def: $vgpr29
                                        ; implicit-def: $vgpr4_vgpr5
.LBB4_169:                              ;   in Loop: Header=BB4_67 Depth=2
	s_andn2_saveexec_b64 s[18:19], s[48:49]
; %bb.170:                              ;   in Loop: Header=BB4_67 Depth=2
	v_or_b32_sdwa v2, v29, s68 dst_sel:DWORD dst_unused:UNUSED_PAD src0_sel:BYTE_3 src1_sel:DWORD
	v_cmp_eq_u64_e32 vcc, 0, v[4:5]
	v_cndmask_b32_e32 v28, v2, v28, vcc
; %bb.171:                              ;   in Loop: Header=BB4_67 Depth=2
	s_or_b64 exec, exec, s[18:19]
	v_lshrrev_b16_e32 v4, 8, v54
	v_cmp_ne_u16_e32 vcc, 0, v4
	v_mov_b32_e32 v2, 0
	s_and_saveexec_b64 s[18:19], vcc
	s_cbranch_execz .LBB4_179
; %bb.172:                              ;   in Loop: Header=BB4_67 Depth=2
	v_cmp_ne_u16_e32 vcc, s66, v4
	v_bfrev_b32_e32 v2, 1
	s_and_saveexec_b64 s[48:49], vcc
	s_cbranch_execz .LBB4_178
; %bb.173:                              ;   in Loop: Header=BB4_67 Depth=2
	v_and_b32_e32 v2, 0x7c, v4
	v_and_b32_e32 v29, 3, v4
	v_cmp_ne_u32_e32 vcc, s64, v2
                                        ; implicit-def: $vgpr2
	s_and_saveexec_b64 s[50:51], vcc
	s_xor_b64 s[50:51], exec, s[50:51]
	s_cbranch_execz .LBB4_175
; %bb.174:                              ;   in Loop: Header=BB4_67 Depth=2
	v_ffbh_u32_e32 v31, v29
	v_min_u32_e32 v31, 32, v31
	v_mov_b32_e32 v5, v55
	v_subrev_u32_e32 v32, 29, v31
	v_bfe_u32 v2, v4, 2, 5
	v_lshlrev_b64 v[4:5], v32, v[4:5]
	v_sub_u32_e32 v5, 30, v31
	v_cmp_eq_u32_e32 vcc, 0, v2
	v_cndmask_b32_e32 v2, v2, v5, vcc
	v_and_b32_e32 v4, 3, v4
	v_lshlrev_b32_e32 v5, 16, v54
	v_lshl_add_u32 v2, v2, 23, v7
	v_cndmask_b32_e32 v4, v29, v4, vcc
	v_and_or_b32 v2, v5, s65, v2
	v_lshl_or_b32 v2, v4, 21, v2
                                        ; implicit-def: $vgpr29
.LBB4_175:                              ;   in Loop: Header=BB4_67 Depth=2
	s_andn2_saveexec_b64 s[50:51], s[50:51]
; %bb.176:                              ;   in Loop: Header=BB4_67 Depth=2
	v_cmp_lt_i16_e32 vcc, -1, v54
	v_cndmask_b32_e32 v2, v24, v25, vcc
	v_cmp_eq_u32_e32 vcc, 0, v29
	v_cndmask_b32_e32 v2, v6, v2, vcc
; %bb.177:                              ;   in Loop: Header=BB4_67 Depth=2
	s_or_b64 exec, exec, s[50:51]
.LBB4_178:                              ;   in Loop: Header=BB4_67 Depth=2
	s_or_b64 exec, exec, s[48:49]
.LBB4_179:                              ;   in Loop: Header=BB4_67 Depth=2
	s_or_b64 exec, exec, s[18:19]
	v_mul_f32_e32 v31, v62, v2
	v_and_b32_sdwa v2, v31, s66 dst_sel:DWORD dst_unused:UNUSED_PAD src0_sel:BYTE_3 src1_sel:DWORD
	v_and_b32_e32 v32, 0x7f800000, v31
	v_mov_b32_e32 v33, v55
	v_and_b32_e32 v4, 0x7fffff, v31
	v_mov_b32_e32 v5, v55
	v_or_b32_e32 v29, 0x7b, v2
	v_cmp_ne_u64_e32 vcc, s[38:39], v[32:33]
	s_and_saveexec_b64 s[18:19], vcc
	s_xor_b64 s[48:49], exec, s[18:19]
	s_cbranch_execz .LBB4_189
; %bb.180:                              ;   in Loop: Header=BB4_67 Depth=2
	v_and_b32_e32 v32, 0x7fffffff, v31
	v_mov_b32_e32 v33, v55
	v_cmp_gt_u64_e32 vcc, s[40:41], v[32:33]
	s_and_saveexec_b64 s[50:51], vcc
	s_cbranch_execz .LBB4_188
; %bb.181:                              ;   in Loop: Header=BB4_67 Depth=2
	v_cmp_ne_u32_e32 vcc, 0, v31
	v_mov_b32_e32 v29, 0
	s_and_saveexec_b64 s[52:53], vcc
	s_cbranch_execz .LBB4_187
; %bb.182:                              ;   in Loop: Header=BB4_67 Depth=2
	v_bfe_u32 v29, v31, 23, 8
	v_sub_u32_e32 v32, 0x71, v29
	v_cmp_gt_u32_e32 vcc, s67, v29
	v_add_u32_e32 v31, 0xffffff81, v29
	v_cndmask_b32_e32 v32, 0, v32, vcc
	v_cmp_eq_u32_e32 vcc, 0, v29
	v_cndmask_b32_e32 v29, v31, v48, vcc
	v_cndmask_b32_e32 v31, v32, v49, vcc
	v_or_b32_e32 v33, 0x800000, v4
	v_add_u32_e32 v32, 21, v31
	v_cndmask_b32_e32 v4, v33, v4, vcc
	v_lshlrev_b64 v[32:33], v32, -1
	v_not_b32_e32 v32, v32
	v_and_b32_e32 v36, v4, v32
	v_add_u32_e32 v32, 20, v31
	v_lshrrev_b64 v[4:5], v31, v[4:5]
	v_not_b32_e32 v33, v33
	v_lshlrev_b64 v[40:41], v32, 1
	v_lshrrev_b32_e32 v32, 23, v4
	v_and_b32_e32 v37, 0, v33
	v_add3_u32 v32, v31, v29, v32
	v_bfe_u32 v29, v4, 21, 1
	v_add_u32_e32 v29, -1, v29
	v_cmp_eq_u64_e32 vcc, v[36:37], v[40:41]
	v_cndmask_b32_e32 v29, 0, v29, vcc
	v_add_u32_e32 v29, v29, v4
	v_and_b32_e32 v29, 0x1fffff, v29
	v_add_co_u32_e32 v4, vcc, v29, v4
	v_add_u32_e32 v31, 14, v32
	v_addc_co_u32_e32 v5, vcc, 0, v5, vcc
	v_cmp_ne_u32_e32 vcc, 0, v31
                                        ; implicit-def: $vgpr29
	s_and_saveexec_b64 s[18:19], vcc
	s_xor_b64 s[18:19], exec, s[18:19]
; %bb.183:                              ;   in Loop: Header=BB4_67 Depth=2
	v_add_u32_e32 v29, 15, v32
	v_cmp_lt_u64_e32 vcc, s[42:43], v[4:5]
	v_cndmask_b32_e32 v29, v31, v29, vcc
	v_cndmask_b32_e64 v31, 0, 1, vcc
	v_lshrrev_b64 v[4:5], v31, v[4:5]
; %bb.184:                              ;   in Loop: Header=BB4_67 Depth=2
	s_andn2_saveexec_b64 s[18:19], s[18:19]
; %bb.185:                              ;   in Loop: Header=BB4_67 Depth=2
	v_bfe_u32 v29, v4, 23, 1
; %bb.186:                              ;   in Loop: Header=BB4_67 Depth=2
	s_or_b64 exec, exec, s[18:19]
	v_lshrrev_b64 v[4:5], 21, v[4:5]
	v_cmp_gt_i32_e32 vcc, 32, v29
	v_cndmask_b32_e32 v5, 0, v5, vcc
	v_cndmask_b32_e32 v4, 3, v4, vcc
	v_cmp_eq_u64_e64 s[18:19], 0, v[4:5]
	v_min_i32_e32 v5, 31, v29
	v_cmp_eq_u32_e32 vcc, 0, v29
	v_lshlrev_b32_e32 v5, 2, v5
	v_and_or_b32 v4, v4, 3, v5
	s_and_b64 s[18:19], vcc, s[18:19]
	v_cndmask_b32_e64 v4, v4, 0, s[18:19]
	v_or_b32_e32 v29, v4, v2
.LBB4_187:                              ;   in Loop: Header=BB4_67 Depth=2
	s_or_b64 exec, exec, s[52:53]
.LBB4_188:                              ;   in Loop: Header=BB4_67 Depth=2
	s_or_b64 exec, exec, s[50:51]
                                        ; implicit-def: $vgpr31
                                        ; implicit-def: $vgpr4_vgpr5
.LBB4_189:                              ;   in Loop: Header=BB4_67 Depth=2
	s_andn2_saveexec_b64 s[18:19], s[48:49]
; %bb.190:                              ;   in Loop: Header=BB4_67 Depth=2
	v_or_b32_sdwa v2, v31, s68 dst_sel:DWORD dst_unused:UNUSED_PAD src0_sel:BYTE_3 src1_sel:DWORD
	v_cmp_eq_u64_e32 vcc, 0, v[4:5]
	v_cndmask_b32_e32 v29, v2, v29, vcc
; %bb.191:                              ;   in Loop: Header=BB4_67 Depth=2
	s_or_b64 exec, exec, s[18:19]
	v_and_b32_sdwa v5, v54, s62 dst_sel:DWORD dst_unused:UNUSED_PAD src0_sel:WORD_1 src1_sel:DWORD
	v_lshrrev_b32_e32 v2, 16, v54
	v_cmp_ne_u16_e32 vcc, 0, v5
	v_mov_b32_e32 v4, 0
	s_and_saveexec_b64 s[18:19], vcc
	s_cbranch_execz .LBB4_199
; %bb.192:                              ;   in Loop: Header=BB4_67 Depth=2
	v_cmp_ne_u16_e32 vcc, s66, v5
	v_bfrev_b32_e32 v4, 1
	s_and_saveexec_b64 s[48:49], vcc
	s_cbranch_execz .LBB4_198
; %bb.193:                              ;   in Loop: Header=BB4_67 Depth=2
	v_and_b32_e32 v4, 0x7c0000, v54
	v_bfe_u32 v5, v54, 16, 2
	v_cmp_ne_u32_e32 vcc, s69, v4
                                        ; implicit-def: $vgpr4
	s_and_saveexec_b64 s[50:51], vcc
	s_xor_b64 s[50:51], exec, s[50:51]
	s_cbranch_execz .LBB4_195
; %bb.194:                              ;   in Loop: Header=BB4_67 Depth=2
	v_ffbh_u32_e32 v31, v5
	v_min_u32_e32 v31, 32, v31
	v_bfe_u32 v4, v54, 18, 5
	v_subrev_u32_e32 v32, 29, v31
	v_lshlrev_b64 v[32:33], v32, v[2:3]
	v_sub_u32_e32 v2, 30, v31
	v_cmp_eq_u32_e32 vcc, 0, v4
	v_and_b32_e32 v31, 3, v32
	v_cndmask_b32_e32 v2, v4, v2, vcc
	v_cndmask_b32_e32 v4, v5, v31, vcc
	v_lshlrev_b32_e32 v5, 8, v54
	v_lshl_add_u32 v2, v2, 23, v7
	v_and_or_b32 v2, v5, s65, v2
	v_lshl_or_b32 v4, v4, 21, v2
                                        ; implicit-def: $vgpr5
                                        ; implicit-def: $vgpr2
.LBB4_195:                              ;   in Loop: Header=BB4_67 Depth=2
	s_andn2_saveexec_b64 s[50:51], s[50:51]
; %bb.196:                              ;   in Loop: Header=BB4_67 Depth=2
	v_cmp_gt_i16_sdwa vcc, sext(v2), v47 src0_sel:BYTE_0 src1_sel:DWORD
	v_cndmask_b32_e32 v2, v24, v25, vcc
	v_cmp_eq_u32_e32 vcc, 0, v5
	v_cndmask_b32_e32 v4, v6, v2, vcc
; %bb.197:                              ;   in Loop: Header=BB4_67 Depth=2
	s_or_b64 exec, exec, s[50:51]
.LBB4_198:                              ;   in Loop: Header=BB4_67 Depth=2
	s_or_b64 exec, exec, s[48:49]
.LBB4_199:                              ;   in Loop: Header=BB4_67 Depth=2
	s_or_b64 exec, exec, s[18:19]
	v_mul_f32_e32 v32, v62, v4
	v_and_b32_sdwa v2, v32, s66 dst_sel:DWORD dst_unused:UNUSED_PAD src0_sel:BYTE_3 src1_sel:DWORD
	v_and_b32_e32 v36, 0x7f800000, v32
	v_mov_b32_e32 v37, v55
	v_and_b32_e32 v4, 0x7fffff, v32
	v_mov_b32_e32 v5, v55
	v_or_b32_e32 v31, 0x7b, v2
	v_cmp_ne_u64_e32 vcc, s[38:39], v[36:37]
	s_and_saveexec_b64 s[18:19], vcc
	s_xor_b64 s[48:49], exec, s[18:19]
	s_cbranch_execz .LBB4_209
; %bb.200:                              ;   in Loop: Header=BB4_67 Depth=2
	v_and_b32_e32 v36, 0x7fffffff, v32
	v_mov_b32_e32 v37, v55
	v_cmp_gt_u64_e32 vcc, s[40:41], v[36:37]
	s_and_saveexec_b64 s[50:51], vcc
	s_cbranch_execz .LBB4_208
; %bb.201:                              ;   in Loop: Header=BB4_67 Depth=2
	v_cmp_ne_u32_e32 vcc, 0, v32
	v_mov_b32_e32 v31, 0
	s_and_saveexec_b64 s[52:53], vcc
	s_cbranch_execz .LBB4_207
; %bb.202:                              ;   in Loop: Header=BB4_67 Depth=2
	v_bfe_u32 v31, v32, 23, 8
	v_sub_u32_e32 v33, 0x71, v31
	v_cmp_gt_u32_e32 vcc, s67, v31
	v_cndmask_b32_e32 v33, 0, v33, vcc
	v_cmp_eq_u32_e32 vcc, 0, v31
	v_add_u32_e32 v32, 0xffffff81, v31
	v_cndmask_b32_e32 v38, v33, v49, vcc
	v_cndmask_b32_e32 v31, v32, v48, vcc
	v_add_u32_e32 v32, 21, v38
	v_or_b32_e32 v36, 0x800000, v4
	v_lshlrev_b64 v[32:33], v32, -1
	v_cndmask_b32_e32 v4, v36, v4, vcc
	v_not_b32_e32 v32, v32
	v_and_b32_e32 v36, v4, v32
	v_add_u32_e32 v32, 20, v38
	v_lshrrev_b64 v[4:5], v38, v[4:5]
	v_not_b32_e32 v33, v33
	v_lshlrev_b64 v[40:41], v32, 1
	v_lshrrev_b32_e32 v32, 23, v4
	v_and_b32_e32 v37, 0, v33
	v_add3_u32 v33, v38, v31, v32
	v_bfe_u32 v31, v4, 21, 1
	v_add_u32_e32 v31, -1, v31
	v_cmp_eq_u64_e32 vcc, v[36:37], v[40:41]
	v_cndmask_b32_e32 v31, 0, v31, vcc
	v_add_u32_e32 v31, v31, v4
	v_and_b32_e32 v31, 0x1fffff, v31
	v_add_co_u32_e32 v4, vcc, v31, v4
	v_add_u32_e32 v32, 14, v33
	v_addc_co_u32_e32 v5, vcc, 0, v5, vcc
	v_cmp_ne_u32_e32 vcc, 0, v32
                                        ; implicit-def: $vgpr31
	s_and_saveexec_b64 s[18:19], vcc
	s_xor_b64 s[18:19], exec, s[18:19]
; %bb.203:                              ;   in Loop: Header=BB4_67 Depth=2
	v_add_u32_e32 v31, 15, v33
	v_cmp_lt_u64_e32 vcc, s[42:43], v[4:5]
	v_cndmask_b32_e32 v31, v32, v31, vcc
	v_cndmask_b32_e64 v32, 0, 1, vcc
	v_lshrrev_b64 v[4:5], v32, v[4:5]
; %bb.204:                              ;   in Loop: Header=BB4_67 Depth=2
	s_andn2_saveexec_b64 s[18:19], s[18:19]
; %bb.205:                              ;   in Loop: Header=BB4_67 Depth=2
	v_bfe_u32 v31, v4, 23, 1
; %bb.206:                              ;   in Loop: Header=BB4_67 Depth=2
	s_or_b64 exec, exec, s[18:19]
	v_lshrrev_b64 v[4:5], 21, v[4:5]
	v_cmp_gt_i32_e32 vcc, 32, v31
	v_cndmask_b32_e32 v5, 0, v5, vcc
	v_cndmask_b32_e32 v4, 3, v4, vcc
	v_cmp_eq_u64_e64 s[18:19], 0, v[4:5]
	v_min_i32_e32 v5, 31, v31
	v_lshlrev_b32_e32 v5, 2, v5
	v_cmp_eq_u32_e32 vcc, 0, v31
	v_and_b32_e32 v5, 0xfc, v5
	v_and_or_b32 v4, v4, 3, v5
	s_and_b64 s[18:19], vcc, s[18:19]
	v_cndmask_b32_e64 v4, v4, 0, s[18:19]
	v_or_b32_e32 v31, v4, v2
.LBB4_207:                              ;   in Loop: Header=BB4_67 Depth=2
	s_or_b64 exec, exec, s[52:53]
.LBB4_208:                              ;   in Loop: Header=BB4_67 Depth=2
	s_or_b64 exec, exec, s[50:51]
                                        ; implicit-def: $vgpr32
                                        ; implicit-def: $vgpr4_vgpr5
.LBB4_209:                              ;   in Loop: Header=BB4_67 Depth=2
	s_andn2_saveexec_b64 s[18:19], s[48:49]
; %bb.210:                              ;   in Loop: Header=BB4_67 Depth=2
	v_or_b32_sdwa v2, v32, s68 dst_sel:DWORD dst_unused:UNUSED_PAD src0_sel:BYTE_3 src1_sel:DWORD
	v_cmp_eq_u64_e32 vcc, 0, v[4:5]
	v_cndmask_b32_e32 v31, v2, v31, vcc
; %bb.211:                              ;   in Loop: Header=BB4_67 Depth=2
	s_or_b64 exec, exec, s[18:19]
	v_cmp_lt_u32_e32 vcc, s37, v54
	v_mov_b32_e32 v4, 0
	s_and_saveexec_b64 s[18:19], vcc
	s_cbranch_execz .LBB4_219
; %bb.212:                              ;   in Loop: Header=BB4_67 Depth=2
	v_lshrrev_b32_e32 v2, 24, v54
	v_cmp_ne_u32_e32 vcc, s66, v2
	v_bfrev_b32_e32 v4, 1
	s_and_saveexec_b64 s[48:49], vcc
	s_cbranch_execz .LBB4_218
; %bb.213:                              ;   in Loop: Header=BB4_67 Depth=2
	v_and_b32_e32 v4, 0x7c000000, v54
	v_bfe_u32 v5, v54, 24, 2
	v_cmp_ne_u32_e32 vcc, s70, v4
                                        ; implicit-def: $vgpr4
	s_and_saveexec_b64 s[50:51], vcc
	s_xor_b64 s[50:51], exec, s[50:51]
	s_cbranch_execz .LBB4_215
; %bb.214:                              ;   in Loop: Header=BB4_67 Depth=2
	v_ffbh_u32_e32 v32, v5
	v_min_u32_e32 v36, 32, v32
	v_bfe_u32 v4, v54, 26, 5
	v_subrev_u32_e32 v32, 29, v36
	v_lshlrev_b64 v[32:33], v32, v[2:3]
	v_sub_u32_e32 v2, 30, v36
	v_cmp_eq_u32_e32 vcc, 0, v4
	v_cndmask_b32_e32 v2, v4, v2, vcc
	v_and_b32_e32 v32, 3, v32
	v_lshl_add_u32 v2, v2, 23, v7
	v_cndmask_b32_e32 v4, v5, v32, vcc
	v_and_or_b32 v2, v54, s65, v2
	v_lshl_or_b32 v4, v4, 21, v2
                                        ; implicit-def: $vgpr5
.LBB4_215:                              ;   in Loop: Header=BB4_67 Depth=2
	s_andn2_saveexec_b64 s[50:51], s[50:51]
; %bb.216:                              ;   in Loop: Header=BB4_67 Depth=2
	v_cmp_lt_i32_e32 vcc, -1, v54
	v_cndmask_b32_e32 v2, v24, v25, vcc
	v_cmp_eq_u32_e32 vcc, 0, v5
	v_cndmask_b32_e32 v4, v6, v2, vcc
; %bb.217:                              ;   in Loop: Header=BB4_67 Depth=2
	s_or_b64 exec, exec, s[50:51]
.LBB4_218:                              ;   in Loop: Header=BB4_67 Depth=2
	s_or_b64 exec, exec, s[48:49]
.LBB4_219:                              ;   in Loop: Header=BB4_67 Depth=2
	s_or_b64 exec, exec, s[18:19]
	v_mul_f32_e32 v5, v62, v4
	v_and_b32_sdwa v2, v5, s66 dst_sel:DWORD dst_unused:UNUSED_PAD src0_sel:BYTE_3 src1_sel:DWORD
	v_and_b32_e32 v32, 0x7f800000, v5
	v_mov_b32_e32 v33, v55
	v_and_b32_e32 v54, 0x7fffff, v5
	v_or_b32_e32 v4, 0x7b, v2
	v_cmp_ne_u64_e32 vcc, s[38:39], v[32:33]
	s_and_saveexec_b64 s[18:19], vcc
	s_xor_b64 s[48:49], exec, s[18:19]
	s_cbranch_execz .LBB4_229
; %bb.220:                              ;   in Loop: Header=BB4_67 Depth=2
	v_and_b32_e32 v32, 0x7fffffff, v5
	v_mov_b32_e32 v33, v55
	v_cmp_gt_u64_e32 vcc, s[40:41], v[32:33]
	s_and_saveexec_b64 s[50:51], vcc
	s_cbranch_execz .LBB4_228
; %bb.221:                              ;   in Loop: Header=BB4_67 Depth=2
	v_cmp_ne_u32_e32 vcc, 0, v5
	v_mov_b32_e32 v4, 0
	s_and_saveexec_b64 s[52:53], vcc
	s_cbranch_execz .LBB4_227
; %bb.222:                              ;   in Loop: Header=BB4_67 Depth=2
	v_bfe_u32 v4, v5, 23, 8
	v_sub_u32_e32 v32, 0x71, v4
	v_cmp_gt_u32_e32 vcc, s67, v4
	v_cndmask_b32_e32 v32, 0, v32, vcc
	v_cmp_eq_u32_e32 vcc, 0, v4
	v_or_b32_e32 v33, 0x800000, v54
	v_cndmask_b32_e32 v32, v32, v49, vcc
	v_add_u32_e32 v5, 0xffffff81, v4
	v_cndmask_b32_e32 v54, v33, v54, vcc
	v_add_u32_e32 v4, 21, v32
	v_cndmask_b32_e32 v36, v5, v48, vcc
	v_lshlrev_b64 v[4:5], v4, -1
	v_add_u32_e32 v33, 20, v32
	v_lshrrev_b64 v[44:45], v32, v[54:55]
	v_not_b32_e32 v5, v5
	v_not_b32_e32 v4, v4
	v_lshlrev_b64 v[40:41], v33, 1
	v_lshrrev_b32_e32 v33, 23, v44
	v_and_b32_e32 v5, 0, v5
	v_and_b32_e32 v4, v54, v4
	v_add3_u32 v36, v32, v36, v33
	v_bfe_u32 v32, v44, 21, 1
	v_add_u32_e32 v32, -1, v32
	v_cmp_eq_u64_e32 vcc, v[4:5], v[40:41]
	v_cndmask_b32_e32 v4, 0, v32, vcc
	v_add_u32_e32 v4, v4, v44
	v_and_b32_e32 v4, 0x1fffff, v4
	v_add_co_u32_e32 v4, vcc, v4, v44
	v_add_u32_e32 v33, 14, v36
	v_addc_co_u32_e32 v5, vcc, 0, v45, vcc
	v_cmp_ne_u32_e32 vcc, 0, v33
                                        ; implicit-def: $vgpr32
	s_and_saveexec_b64 s[18:19], vcc
	s_xor_b64 s[18:19], exec, s[18:19]
; %bb.223:                              ;   in Loop: Header=BB4_67 Depth=2
	v_add_u32_e32 v32, 15, v36
	v_cmp_lt_u64_e32 vcc, s[42:43], v[4:5]
	v_cndmask_b32_e32 v32, v33, v32, vcc
	v_cndmask_b32_e64 v33, 0, 1, vcc
	v_lshrrev_b64 v[4:5], v33, v[4:5]
; %bb.224:                              ;   in Loop: Header=BB4_67 Depth=2
	s_andn2_saveexec_b64 s[18:19], s[18:19]
; %bb.225:                              ;   in Loop: Header=BB4_67 Depth=2
	v_bfe_u32 v32, v4, 23, 1
; %bb.226:                              ;   in Loop: Header=BB4_67 Depth=2
	s_or_b64 exec, exec, s[18:19]
	v_lshrrev_b64 v[4:5], 21, v[4:5]
	v_cmp_gt_i32_e32 vcc, 32, v32
	v_cndmask_b32_e32 v5, 0, v5, vcc
	v_cndmask_b32_e32 v4, 3, v4, vcc
	v_cmp_eq_u64_e64 s[18:19], 0, v[4:5]
	v_min_i32_e32 v5, 31, v32
	v_lshlrev_b32_e32 v5, 2, v5
	v_cmp_eq_u32_e32 vcc, 0, v32
	v_and_b32_e32 v5, 0xfc, v5
	v_and_or_b32 v4, v4, 3, v5
	s_and_b64 s[18:19], vcc, s[18:19]
	v_cndmask_b32_e64 v4, v4, 0, s[18:19]
	v_accvgpr_read_b32 v51, a11
	v_accvgpr_read_b32 v44, a48
	v_or_b32_e32 v4, v4, v2
	v_accvgpr_read_b32 v50, a10
	v_accvgpr_read_b32 v45, a49
.LBB4_227:                              ;   in Loop: Header=BB4_67 Depth=2
	s_or_b64 exec, exec, s[52:53]
.LBB4_228:                              ;   in Loop: Header=BB4_67 Depth=2
	s_or_b64 exec, exec, s[50:51]
                                        ; implicit-def: $vgpr5
.LBB4_229:                              ;   in Loop: Header=BB4_67 Depth=2
	s_andn2_saveexec_b64 s[18:19], s[48:49]
	s_cbranch_execz .LBB4_66
; %bb.230:                              ;   in Loop: Header=BB4_67 Depth=2
	v_or_b32_sdwa v2, v5, s68 dst_sel:DWORD dst_unused:UNUSED_PAD src0_sel:BYTE_3 src1_sel:DWORD
	v_cmp_eq_u64_e32 vcc, 0, v[54:55]
	v_cndmask_b32_e32 v4, v2, v4, vcc
	s_branch .LBB4_66
.LBB4_231:                              ;   in Loop: Header=BB4_29 Depth=1
	s_or_b64 exec, exec, s[46:47]
	v_accvgpr_read_b32 v8, a30
	v_accvgpr_read_b32 v9, a31
.LBB4_232:                              ;   in Loop: Header=BB4_29 Depth=1
	s_or_b64 exec, exec, s[44:45]
	v_and_b32_e32 v54, 0x7ffffff8, v16
	v_cmp_eq_u64_e32 vcc, s[34:35], v[54:55]
	v_cmp_gt_i32_e64 s[18:19], s60, v0
	s_and_b64 s[18:19], vcc, s[18:19]
	s_and_saveexec_b64 s[44:45], s[18:19]
	s_cbranch_execz .LBB4_235
; %bb.233:                              ;   in Loop: Header=BB4_29 Depth=1
	v_mul_lo_u32 v4, v1, s60
	v_mov_b32_e32 v1, v16
	s_waitcnt vmcnt(0) lgkmcnt(0)
	v_add_co_u32_e64 v2, vcc, 0, 0
	v_ashrrev_i32_e32 v5, 31, v4
	v_addc_co_u32_e32 v3, vcc, 1, v1, vcc
	v_ashrrev_i32_e32 v1, 31, v0
	v_lshlrev_b64 v[8:9], 4, v[0:1]
	v_lshlrev_b64 v[4:5], 4, v[4:5]
	v_add_co_u32_e32 v1, vcc, v8, v4
	v_addc_co_u32_e32 v4, vcc, v9, v5, vcc
	v_accvgpr_read_b32 v8, a24
	v_accvgpr_read_b32 v9, a25
	v_add_co_u32_e32 v10, vcc, v8, v1
	v_addc_co_u32_e32 v11, vcc, v9, v4, vcc
	v_accvgpr_read_b32 v8, a30
	v_accvgpr_read_b32 v9, a31
	s_mov_b64 s[46:47], 0
.LBB4_234:                              ;   Parent Loop BB4_29 Depth=1
                                        ; =>  This Inner Loop Header: Depth=2
	v_mov_b32_e32 v4, v2
	v_mov_b32_e32 v5, v3
	v_add_u32_e32 v0, v0, v20
	global_store_dwordx4 v[10:11], v[2:5], off
	v_cmp_le_i32_e32 vcc, s60, v0
	v_add_co_u32_e64 v10, s[18:19], v10, v58
	s_or_b64 s[46:47], vcc, s[46:47]
	v_addc_co_u32_e64 v11, vcc, v11, v59, s[18:19]
	s_andn2_b64 exec, exec, s[46:47]
	s_cbranch_execnz .LBB4_234
.LBB4_235:                              ;   in Loop: Header=BB4_29 Depth=1
	s_or_b64 exec, exec, s[44:45]
	v_accvgpr_read_b32 v0, a8
	v_accvgpr_read_b32 v1, a9
	s_waitcnt vmcnt(0) lgkmcnt(0)
	v_add_co_u32_e32 v2, vcc, v44, v0
	v_addc_co_u32_e32 v1, vcc, v45, v1, vcc
	v_add_co_u32_e64 v28, s[18:19], 1, v16
	s_andn2_b64 vcc, exec, s[30:31]
	v_addc_co_u32_e64 v29, s[18:19], 0, v17, s[18:19]
	s_cbranch_vccnz .LBB4_701
; %bb.236:                              ;   in Loop: Header=BB4_29 Depth=1
	v_accvgpr_read_b32 v0, a37
	v_accvgpr_write_b32 a51, v2
	v_add_co_u32_e32 v2, vcc, v0, v2
	v_accvgpr_read_b32 v0, a39
	v_addc_co_u32_e32 v3, vcc, v0, v1, vcc
	v_accvgpr_write_b32 a55, v3
	v_accvgpr_write_b32 a52, v1
	;; [unrolled: 1-line block ×3, first 2 shown]
	v_add_u16_e32 v8, 1, v16
	s_mov_b32 s76, 2
	s_branch .LBB4_238
.LBB4_237:                              ;   in Loop: Header=BB4_238 Depth=2
	s_or_b64 exec, exec, s[44:45]
	v_add_co_u32_e32 v34, vcc, 1, v34
	v_addc_co_u32_e32 v35, vcc, 0, v35, vcc
	s_add_i32 s76, s76, 1
	v_add_co_u32_e32 v28, vcc, 1, v28
	v_addc_co_u32_e32 v29, vcc, 0, v29, vcc
	s_cmp_eq_u32 s76, s20
	v_add_u16_e32 v8, 1, v8
	s_cbranch_scc1 .LBB4_702
.LBB4_238:                              ;   Parent Loop BB4_29 Depth=1
                                        ; =>  This Loop Header: Depth=2
                                        ;       Child Loop BB4_253 Depth 3
                                        ;       Child Loop BB4_269 Depth 3
	;; [unrolled: 1-line block ×3, first 2 shown]
                                        ;         Child Loop BB4_290 Depth 4
                                        ;       Child Loop BB4_690 Depth 3
                                        ;       Child Loop BB4_246 Depth 3
	s_sub_i32 s18, s20, s76
	s_ashr_i32 s19, s18, 31
	s_lshl_b64 s[18:19], s[18:19], 2
	s_waitcnt vmcnt(0) lgkmcnt(0)
	v_accvgpr_read_b32 v2, a6
	v_mov_b32_e32 v1, s19
	v_accvgpr_read_b32 v3, a7
	v_add_co_u32_e32 v0, vcc, s18, v2
	v_addc_co_u32_e32 v1, vcc, v3, v1, vcc
	flat_load_dword v2, v[0:1]
	s_and_saveexec_b64 s[18:19], s[6:7]
	s_cbranch_execnz .LBB4_247
; %bb.239:                              ;   in Loop: Header=BB4_238 Depth=2
	s_or_b64 exec, exec, s[18:19]
	s_and_saveexec_b64 s[18:19], s[10:11]
	s_cbranch_execnz .LBB4_262
.LBB4_240:                              ;   in Loop: Header=BB4_238 Depth=2
	s_or_b64 exec, exec, s[18:19]
	v_accvgpr_read_b32 v0, a2
	s_and_saveexec_b64 s[44:45], s[16:17]
	s_cbranch_execnz .LBB4_280
.LBB4_241:                              ;   in Loop: Header=BB4_238 Depth=2
	s_or_b64 exec, exec, s[44:45]
	s_and_saveexec_b64 s[18:19], s[10:11]
	s_cbranch_execnz .LBB4_683
.LBB4_242:                              ;   in Loop: Header=BB4_238 Depth=2
	s_or_b64 exec, exec, s[18:19]
	s_and_saveexec_b64 s[18:19], s[14:15]
	s_cbranch_execz .LBB4_244
.LBB4_243:                              ;   in Loop: Header=BB4_238 Depth=2
	s_waitcnt vmcnt(0) lgkmcnt(0)
	v_accvgpr_read_b32 v2, a26
	v_accvgpr_read_b32 v3, a27
	v_add_co_u32_e32 v2, vcc, 1, v2
	v_addc_co_u32_e32 v3, vcc, 0, v3, vcc
	v_accvgpr_write_b32 a27, v3
	v_accvgpr_read_b32 v4, a28
	v_accvgpr_write_b32 a26, v2
	v_accvgpr_read_b32 v5, a29
	flat_store_dwordx2 v[4:5], v[2:3]
.LBB4_244:                              ;   in Loop: Header=BB4_238 Depth=2
	s_or_b64 exec, exec, s[18:19]
	v_and_b32_e32 v54, 0x7ffffff8, v28
	v_cmp_eq_u64_e32 vcc, s[34:35], v[54:55]
	v_cmp_gt_i32_e64 s[18:19], s60, v0
	s_and_b64 s[18:19], vcc, s[18:19]
	s_and_saveexec_b64 s[44:45], s[18:19]
	s_cbranch_execz .LBB4_237
; %bb.245:                              ;   in Loop: Header=BB4_238 Depth=2
	v_and_b32_e32 v1, 7, v8
	s_waitcnt vmcnt(0) lgkmcnt(0)
	v_mul_lo_u32 v2, s60, v1
	v_ashrrev_i32_e32 v3, 31, v2
	v_lshlrev_b64 v[4:5], 4, v[2:3]
	v_mov_b32_e32 v1, v28
	v_add_co_u32_e64 v2, vcc, 0, 0
	v_addc_co_u32_e32 v3, vcc, 1, v1, vcc
	v_ashrrev_i32_e32 v1, 31, v0
	v_lshlrev_b64 v[10:11], 4, v[0:1]
	v_add_co_u32_e32 v1, vcc, v10, v4
	v_addc_co_u32_e32 v4, vcc, v11, v5, vcc
	v_accvgpr_read_b32 v10, a24
	v_accvgpr_read_b32 v11, a25
	v_add_co_u32_e32 v10, vcc, v10, v1
	v_addc_co_u32_e32 v11, vcc, v11, v4, vcc
	s_mov_b64 s[46:47], 0
.LBB4_246:                              ;   Parent Loop BB4_29 Depth=1
                                        ;     Parent Loop BB4_238 Depth=2
                                        ; =>    This Inner Loop Header: Depth=3
	v_mov_b32_e32 v4, v2
	v_mov_b32_e32 v5, v3
	v_add_u32_e32 v0, v0, v20
	global_store_dwordx4 v[10:11], v[2:5], off
	v_cmp_le_i32_e32 vcc, s60, v0
	v_add_co_u32_e64 v10, s[18:19], v10, v58
	s_or_b64 s[46:47], vcc, s[46:47]
	v_addc_co_u32_e64 v11, vcc, v11, v59, s[18:19]
	s_andn2_b64 exec, exec, s[46:47]
	s_cbranch_execnz .LBB4_246
	s_branch .LBB4_237
.LBB4_247:                              ;   in Loop: Header=BB4_238 Depth=2
	v_accvgpr_read_b32 v10, a20
	v_accvgpr_read_b32 v12, a22
	;; [unrolled: 1-line block ×3, first 2 shown]
	v_add_co_u32_e32 v0, vcc, 1, v12
	v_addc_co_u32_e32 v1, vcc, 0, v13, vcc
	v_add_co_u32_e32 v4, vcc, 8, v52
	v_addc_co_u32_e32 v5, vcc, 0, v53, vcc
	v_cmp_lt_u64_e32 vcc, v[4:5], v[0:1]
	v_accvgpr_read_b32 v11, a21
	s_and_saveexec_b64 s[44:45], vcc
	s_cbranch_execz .LBB4_259
; %bb.248:                              ;   in Loop: Header=BB4_238 Depth=2
	s_sleep 1
	flat_load_dwordx2 v[52:53], v[50:51] glc
	v_cmp_eq_u32_e32 vcc, 0, v30
	s_and_saveexec_b64 s[46:47], vcc
	s_cbranch_execz .LBB4_258
; %bb.249:                              ;   in Loop: Header=BB4_238 Depth=2
	v_cndmask_b32_e64 v3, 0, 1, vcc
	s_mov_b64 s[48:49], 0
                                        ; implicit-def: $sgpr50_sgpr51
	s_branch .LBB4_253
.LBB4_250:                              ;   in Loop: Header=BB4_253 Depth=3
	s_or_b64 exec, exec, s[58:59]
	s_orn2_b64 s[56:57], s[56:57], exec
.LBB4_251:                              ;   in Loop: Header=BB4_253 Depth=3
	s_or_b64 exec, exec, s[54:55]
	s_xor_b64 vcc, s[56:57], -1
	s_andn2_b64 s[50:51], s[50:51], exec
	s_and_b64 vcc, vcc, exec
	s_or_b64 s[50:51], s[50:51], vcc
.LBB4_252:                              ;   in Loop: Header=BB4_253 Depth=3
	s_or_b64 exec, exec, s[52:53]
	s_and_b64 vcc, exec, s[50:51]
	s_or_b64 s[48:49], vcc, s[48:49]
	s_andn2_b64 exec, exec, s[48:49]
	s_cbranch_execz .LBB4_257
.LBB4_253:                              ;   Parent Loop BB4_29 Depth=1
                                        ;     Parent Loop BB4_238 Depth=2
                                        ; =>    This Inner Loop Header: Depth=3
	s_waitcnt vmcnt(0) lgkmcnt(0)
	v_add_co_u32_e32 v4, vcc, 8, v52
	v_addc_co_u32_e32 v5, vcc, 0, v53, vcc
	v_cmp_lt_u64_e32 vcc, v[4:5], v[0:1]
	v_mov_b32_e32 v30, 0
	s_or_b64 s[50:51], s[50:51], exec
	s_and_saveexec_b64 s[52:53], vcc
	s_cbranch_execz .LBB4_252
; %bb.254:                              ;   in Loop: Header=BB4_253 Depth=3
	s_sleep 1
	flat_load_dwordx2 v[52:53], v[50:51] glc
	v_add_u32_e32 v3, 1, v3
	v_cmp_eq_u32_e32 vcc, s61, v3
	s_mov_b64 s[56:57], -1
	v_mov_b32_e32 v30, 0
	s_and_saveexec_b64 s[54:55], vcc
	s_cbranch_execz .LBB4_251
; %bb.255:                              ;   in Loop: Header=BB4_253 Depth=3
	s_trap 2
	ds_read_b64 v[4:5], v0
	v_mov_b32_e32 v3, 0
	v_mov_b32_e32 v30, 0
	s_waitcnt vmcnt(0) lgkmcnt(0)
	flat_load_dword v4, v[4:5] glc
	s_waitcnt vmcnt(0) lgkmcnt(0)
	buffer_invl2
	buffer_wbinvl1_vol
	v_cmp_ne_u32_e32 vcc, 0, v4
	s_and_saveexec_b64 s[58:59], vcc
	s_cbranch_execz .LBB4_250
; %bb.256:                              ;   in Loop: Header=BB4_253 Depth=3
	v_mov_b32_e32 v30, 1
	s_xor_b64 s[56:57], exec, -1
	ds_write_b32 v0, v4
	s_trap 2
	s_branch .LBB4_250
.LBB4_257:                              ;   in Loop: Header=BB4_238 Depth=2
	s_or_b64 exec, exec, s[48:49]
.LBB4_258:                              ;   in Loop: Header=BB4_238 Depth=2
	s_or_b64 exec, exec, s[46:47]
.LBB4_259:                              ;   in Loop: Header=BB4_238 Depth=2
	s_or_b64 exec, exec, s[44:45]
	s_and_saveexec_b64 s[44:45], s[8:9]
	s_cbranch_execz .LBB4_261
; %bb.260:                              ;   in Loop: Header=BB4_238 Depth=2
	v_accvgpr_read_b32 v10, a20
	v_accvgpr_read_b32 v12, a22
	v_and_b32_e32 v54, 0x7ffffff8, v12
	v_mov_b32_e32 v3, s21
	v_cmp_eq_u64_e32 vcc, s[34:35], v[54:55]
	v_accvgpr_read_b32 v4, a50
	v_accvgpr_read_b32 v11, a21
	v_cndmask_b32_e32 v4, v4, v3, vcc
	v_and_b32_e32 v3, 7, v12
	v_ashrrev_i32_e32 v5, 31, v4
	v_mad_u64_u32 v[10:11], vcc, v3, 24, v[10:11]
	flat_store_dwordx2 v[10:11], v[4:5] offset:8
	s_waitcnt vmcnt(0)
.LBB4_261:                              ;   in Loop: Header=BB4_238 Depth=2
	s_or_b64 exec, exec, s[44:45]
	v_accvgpr_write_b32 a23, v1
	v_accvgpr_write_b32 a22, v0
	s_or_b64 exec, exec, s[18:19]
	s_and_saveexec_b64 s[18:19], s[10:11]
	s_cbranch_execz .LBB4_240
.LBB4_262:                              ;   in Loop: Header=BB4_238 Depth=2
	s_and_saveexec_b64 vcc, s[28:29]
	s_xor_b64 s[44:45], exec, vcc
	s_cbranch_execz .LBB4_277
; %bb.263:                              ;   in Loop: Header=BB4_238 Depth=2
	s_and_saveexec_b64 s[46:47], s[12:13]
	s_cbranch_execz .LBB4_276
; %bb.264:                              ;   in Loop: Header=BB4_238 Depth=2
	s_mov_b64 s[50:51], exec
	v_mbcnt_lo_u32_b32 v0, s50, 0
	v_mbcnt_hi_u32_b32 v0, s51, v0
	v_cmp_eq_u32_e32 vcc, 0, v0
	s_waitcnt vmcnt(0) lgkmcnt(0)
	buffer_wbinvl1_vol
	s_and_saveexec_b64 s[48:49], vcc
	s_cbranch_execz .LBB4_266
; %bb.265:                              ;   in Loop: Header=BB4_238 Depth=2
	s_bcnt1_i32_b64 vcc_lo, s[50:51]
	v_mov_b32_e32 v54, vcc_lo
	ds_add_u64 v0, v[54:55]
	s_trap 2
.LBB4_266:                              ;   in Loop: Header=BB4_238 Depth=2
	s_or_b64 exec, exec, s[48:49]
	s_trap 2
	ds_read_b64 v[0:1], v0
	v_accvgpr_read_b32 v4, a36
	v_add_co_u32_e32 v42, vcc, v42, v4
	v_accvgpr_read_b32 v3, a47
	v_addc_co_u32_e32 v43, vcc, v43, v3, vcc
	s_waitcnt lgkmcnt(0)
	v_cmp_lt_u64_e32 vcc, v[0:1], v[42:43]
	s_and_saveexec_b64 s[48:49], vcc
	s_cbranch_execz .LBB4_275
; %bb.267:                              ;   in Loop: Header=BB4_238 Depth=2
	s_mov_b32 s77, 0
	s_mov_b64 s[50:51], 0
                                        ; implicit-def: $sgpr52_sgpr53
                                        ; implicit-def: $sgpr54_sgpr55
	s_branch .LBB4_269
.LBB4_268:                              ;   in Loop: Header=BB4_269 Depth=3
	s_or_b64 exec, exec, s[58:59]
	s_and_b64 vcc, exec, vcc
	s_or_b64 s[50:51], vcc, s[50:51]
	s_andn2_b64 vcc, s[52:53], exec
	s_and_b64 s[52:53], s[54:55], exec
	s_or_b64 s[52:53], vcc, s[52:53]
	s_andn2_b64 exec, exec, s[50:51]
	s_cbranch_execz .LBB4_273
.LBB4_269:                              ;   Parent Loop BB4_29 Depth=1
                                        ;     Parent Loop BB4_238 Depth=2
                                        ; =>    This Inner Loop Header: Depth=3
	s_add_i32 s77, s77, 1
	s_cmpk_lg_i32 s77, 0x2710
	s_cselect_b64 s[56:57], -1, 0
	s_and_b64 vcc, exec, s[56:57]
                                        ; implicit-def: $sgpr58_sgpr59
	s_cbranch_vccnz .LBB4_271
; %bb.270:                              ;   in Loop: Header=BB4_269 Depth=3
	s_trap 2
	ds_read_b64 v[0:1], v0
	s_andn2_b64 s[56:57], s[56:57], exec
	s_mov_b32 s77, 0
	s_mov_b64 s[58:59], -1
	s_waitcnt lgkmcnt(0)
	flat_load_dword v0, v[0:1] glc
	s_waitcnt vmcnt(0) lgkmcnt(0)
	buffer_invl2
	buffer_wbinvl1_vol
	v_cmp_eq_u32_e32 vcc, 0, v0
	s_and_b64 vcc, vcc, exec
	s_or_b64 s[56:57], s[56:57], vcc
.LBB4_271:                              ;   in Loop: Header=BB4_269 Depth=3
	s_andn2_b64 s[54:55], s[54:55], exec
	s_and_b64 s[58:59], s[58:59], exec
	s_mov_b64 vcc, -1
	s_or_b64 s[54:55], s[54:55], s[58:59]
	s_and_saveexec_b64 s[58:59], s[56:57]
	s_cbranch_execz .LBB4_268
; %bb.272:                              ;   in Loop: Header=BB4_269 Depth=3
	s_sleep 1
	s_trap 2
	ds_read_b64 v[0:1], v0
	s_andn2_b64 s[54:55], s[54:55], exec
	s_waitcnt lgkmcnt(0)
	v_cmp_ge_u64_e32 vcc, v[0:1], v[42:43]
	s_orn2_b64 vcc, vcc, exec
	s_branch .LBB4_268
.LBB4_273:                              ;   in Loop: Header=BB4_238 Depth=2
	s_or_b64 exec, exec, s[50:51]
	s_and_saveexec_b64 vcc, s[52:53]
	s_xor_b64 vcc, exec, vcc
	s_cbranch_execz .LBB4_275
; %bb.274:                              ;   in Loop: Header=BB4_238 Depth=2
	v_mov_b32_e32 v0, 1
	ds_write_b32 v0, v0
	s_trap 2
.LBB4_275:                              ;   in Loop: Header=BB4_238 Depth=2
	s_or_b64 exec, exec, s[48:49]
	;;#ASMSTART
	s_wakeup
	;;#ASMEND
.LBB4_276:                              ;   in Loop: Header=BB4_238 Depth=2
	s_or_b64 exec, exec, s[46:47]
.LBB4_277:                              ;   in Loop: Header=BB4_238 Depth=2
	s_andn2_saveexec_b64 vcc, s[44:45]
	s_cbranch_execz .LBB4_279
; %bb.278:                              ;   in Loop: Header=BB4_238 Depth=2
	s_waitcnt vmcnt(0) lgkmcnt(0)
	buffer_wbinvl1_vol
	s_barrier
.LBB4_279:                              ;   in Loop: Header=BB4_238 Depth=2
	s_or_b64 exec, exec, vcc
	s_or_b64 exec, exec, s[18:19]
	v_accvgpr_read_b32 v0, a2
	s_and_saveexec_b64 s[44:45], s[16:17]
	s_cbranch_execz .LBB4_241
.LBB4_280:                              ;   in Loop: Header=BB4_238 Depth=2
	v_accvgpr_read_b32 v4, a54
	s_waitcnt vmcnt(0) lgkmcnt(0)
	v_ashrrev_i32_e32 v0, 31, v2
	v_accvgpr_read_b32 v3, a3
	v_accvgpr_read_b32 v5, a55
	;; [unrolled: 1-line block ×3, first 2 shown]
	v_mad_u64_u32 v[44:45], s[18:19], v3, v2, v[4:5]
	v_mul_lo_u32 v1, v1, v2
	v_mul_lo_u32 v0, v3, v0
	v_add3_u32 v45, v1, v45, v0
	v_and_b32_e32 v0, 7, v34
	v_mul_lo_u32 v0, v0, s60
	v_ashrrev_i32_e32 v1, 31, v0
	v_lshlrev_b64 v[0:1], 4, v[0:1]
	v_accvgpr_read_b32 v2, a18
	v_add_co_u32_e32 v9, vcc, v2, v0
	v_and_b32_e32 v0, 7, v28
	v_accvgpr_read_b32 v3, a19
	v_mul_lo_u32 v0, v0, s60
	v_addc_co_u32_e32 v32, vcc, v3, v1, vcc
	v_ashrrev_i32_e32 v1, 31, v0
	v_lshlrev_b64 v[0:1], 4, v[0:1]
	v_accvgpr_read_b32 v2, a24
	v_accvgpr_read_b32 v3, a25
	v_add_co_u32_e32 v60, vcc, v2, v0
	v_addc_co_u32_e32 v61, vcc, v3, v1, vcc
	v_mov_b32_e32 v1, v28
	v_add_co_u32_e64 v31, vcc, 0, 0
	v_add_u32_e32 v33, 1, v34
	v_addc_co_u32_e32 v3, vcc, 1, v1, vcc
	s_mov_b64 s[46:47], 0
	v_mov_b32_e32 v21, v46
	v_accvgpr_read_b32 v0, a2
	s_branch .LBB4_282
.LBB4_281:                              ;   in Loop: Header=BB4_282 Depth=3
	s_or_b64 exec, exec, s[18:19]
	v_lshlrev_b32_e32 v11, 8, v40
	v_add_co_u32_e32 v44, vcc, v44, v56
	v_perm_b32 v12, v11, v17, s71
	v_lshlrev_b32_e32 v11, 8, v26
	v_addc_co_u32_e32 v45, vcc, v45, v57, vcc
	v_lshlrev_b32_e32 v13, 24, v10
	v_perm_b32 v10, v11, v19, s71
	v_and_b32_e32 v2, 0xff, v23
	v_lshl_or_b32 v1, v1, 16, v10
	v_add_co_u32_e32 v10, vcc, v60, v4
	v_lshlrev_b32_e32 v2, 16, v2
	v_addc_co_u32_e32 v11, vcc, v61, v5, vcc
	v_sub_u32_e32 v21, v21, v56
	v_lshl_or_b32 v2, v16, 24, v2
	v_cmp_gt_i32_e32 vcc, 1, v21
	v_or3_b32 v2, v2, v12, v31
	v_or3_b32 v4, v13, v1, v31
	v_mov_b32_e32 v5, v3
	s_or_b64 s[46:47], vcc, s[46:47]
	v_add_u32_e32 v0, v0, v20
	global_store_dwordx4 v[10:11], v[2:5], off
	s_andn2_b64 exec, exec, s[46:47]
	s_cbranch_execz .LBB4_682
.LBB4_282:                              ;   Parent Loop BB4_29 Depth=1
                                        ;     Parent Loop BB4_238 Depth=2
                                        ; =>    This Loop Header: Depth=3
                                        ;         Child Loop BB4_290 Depth 4
	v_and_b32_e32 v4, -4, v44
	v_mov_b32_e32 v5, v45
	global_load_dword v2, v[4:5], off glc slc
	v_min_u32_e32 v1, 8, v21
	v_and_b32_e32 v10, 3, v44
	v_add_co_u32_e32 v10, vcc, v10, v1
	v_addc_co_u32_e64 v11, s[18:19], 0, 0, vcc
	v_mov_b32_e32 v22, 0
	v_cmp_lt_u64_e32 vcc, 4, v[10:11]
	v_mov_b32_e32 v23, 0
	s_and_saveexec_b64 s[18:19], vcc
	s_cbranch_execz .LBB4_284
; %bb.283:                              ;   in Loop: Header=BB4_282 Depth=3
	global_load_dword v23, v[4:5], off offset:4 glc slc
.LBB4_284:                              ;   in Loop: Header=BB4_282 Depth=3
	s_or_b64 exec, exec, s[18:19]
	v_cmp_lt_u64_e32 vcc, 8, v[10:11]
	s_and_saveexec_b64 s[18:19], vcc
	s_cbranch_execz .LBB4_286
; %bb.285:                              ;   in Loop: Header=BB4_282 Depth=3
	global_load_dword v22, v[4:5], off offset:8 glc slc
.LBB4_286:                              ;   in Loop: Header=BB4_282 Depth=3
	s_or_b64 exec, exec, s[18:19]
	v_ashrrev_i32_e32 v1, 31, v0
	v_lshlrev_b64 v[4:5], 4, v[0:1]
	v_add_co_u32_e32 v10, vcc, v9, v4
	v_addc_co_u32_e32 v11, vcc, v32, v5, vcc
	global_load_dwordx4 v[16:19], v[10:11], off glc slc
	v_cmp_eq_u32_e32 vcc, 0, v30
	s_and_saveexec_b64 s[48:49], vcc
	s_cbranch_execz .LBB4_298
; %bb.287:                              ;   in Loop: Header=BB4_282 Depth=3
	s_waitcnt vmcnt(0)
	v_cmp_ne_u32_e32 vcc, v33, v17
	v_cmp_ne_u32_e64 s[18:19], v33, v19
	s_or_b64 s[18:19], vcc, s[18:19]
	v_mov_b32_e32 v30, 0
	s_and_saveexec_b64 s[50:51], s[18:19]
	s_cbranch_execz .LBB4_297
; %bb.288:                              ;   in Loop: Header=BB4_282 Depth=3
	s_mov_b32 s56, 1
	s_mov_b64 s[52:53], 0
	v_mov_b32_e32 v30, 0
	s_branch .LBB4_290
.LBB4_289:                              ;   in Loop: Header=BB4_290 Depth=4
	s_or_b64 exec, exec, s[54:55]
	s_and_b64 s[18:19], exec, s[18:19]
	s_or_b64 s[52:53], s[18:19], s[52:53]
	s_andn2_b64 exec, exec, s[52:53]
	s_cbranch_execz .LBB4_296
.LBB4_290:                              ;   Parent Loop BB4_29 Depth=1
                                        ;     Parent Loop BB4_238 Depth=2
                                        ;       Parent Loop BB4_282 Depth=3
                                        ; =>      This Inner Loop Header: Depth=4
	global_load_dwordx4 v[16:19], v[10:11], off glc slc
	s_add_i32 s56, s56, 1
	s_cmpk_lg_i32 s56, 0x2710
	s_cbranch_scc1 .LBB4_294
; %bb.291:                              ;   in Loop: Header=BB4_290 Depth=4
	s_trap 2
	ds_read_b64 v[26:27], v0
	s_waitcnt vmcnt(0) lgkmcnt(0)
	flat_load_dword v1, v[26:27] glc
	s_waitcnt vmcnt(0) lgkmcnt(0)
	buffer_invl2
	buffer_wbinvl1_vol
	v_cmp_ne_u32_e32 vcc, 0, v1
	s_and_saveexec_b64 s[18:19], vcc
	s_cbranch_execz .LBB4_293
; %bb.292:                              ;   in Loop: Header=BB4_290 Depth=4
	v_mov_b32_e32 v30, 1
	ds_write_b32 v0, v1
	s_trap 2
.LBB4_293:                              ;   in Loop: Header=BB4_290 Depth=4
	s_or_b64 exec, exec, s[18:19]
	s_mov_b32 s56, 0
	v_mov_b32_e32 v1, v30
	v_cmp_eq_u32_e32 vcc, 0, v1
	s_mov_b64 s[18:19], -1
	s_and_saveexec_b64 s[54:55], vcc
	s_cbranch_execz .LBB4_289
	s_branch .LBB4_295
.LBB4_294:                              ;   in Loop: Header=BB4_290 Depth=4
	v_mov_b32_e32 v1, 0
	v_cmp_eq_u32_e32 vcc, 0, v1
	s_mov_b64 s[18:19], -1
	s_and_saveexec_b64 s[54:55], vcc
	s_cbranch_execz .LBB4_289
.LBB4_295:                              ;   in Loop: Header=BB4_290 Depth=4
	s_waitcnt vmcnt(0)
	v_cmp_eq_u32_e32 vcc, v33, v17
	v_cmp_eq_u32_e64 s[18:19], v33, v19
	s_and_b64 s[18:19], vcc, s[18:19]
	s_orn2_b64 s[18:19], s[18:19], exec
	s_branch .LBB4_289
.LBB4_296:                              ;   in Loop: Header=BB4_282 Depth=3
	s_or_b64 exec, exec, s[52:53]
.LBB4_297:                              ;   in Loop: Header=BB4_282 Depth=3
	s_or_b64 exec, exec, s[50:51]
.LBB4_298:                              ;   in Loop: Header=BB4_282 Depth=3
	s_or_b64 exec, exec, s[48:49]
	v_lshlrev_b32_e32 v1, 3, v44
	s_waitcnt vmcnt(1)
	v_alignbit_b32 v54, v23, v2, v1
	v_cmp_ne_u16_sdwa vcc, v54, v55 src0_sel:BYTE_0 src1_sel:DWORD
	v_mov_b32_e32 v2, 0
	s_and_saveexec_b64 s[18:19], vcc
	s_cbranch_execz .LBB4_306
; %bb.299:                              ;   in Loop: Header=BB4_282 Depth=3
	v_cmp_ne_u16_sdwa vcc, sext(v54), s63 src0_sel:BYTE_0 src1_sel:DWORD
	v_bfrev_b32_e32 v2, 1
	s_and_saveexec_b64 s[48:49], vcc
	s_cbranch_execz .LBB4_305
; %bb.300:                              ;   in Loop: Header=BB4_282 Depth=3
	v_and_b32_e32 v2, 0x7c, v54
	v_and_b32_e32 v10, 3, v54
	v_cmp_ne_u32_e32 vcc, s64, v2
                                        ; implicit-def: $vgpr2
	s_and_saveexec_b64 s[50:51], vcc
	s_xor_b64 s[50:51], exec, s[50:51]
	s_cbranch_execz .LBB4_302
; %bb.301:                              ;   in Loop: Header=BB4_282 Depth=3
	v_ffbh_u32_e32 v11, v10
	v_bfe_u32 v2, v54, 2, 5
	v_min_u32_e32 v11, 32, v11
	v_subrev_u32_e32 v26, 29, v11
	v_sub_u32_e32 v11, 30, v11
	v_cmp_eq_u32_e32 vcc, 0, v2
	v_lshlrev_b64 v[26:27], v26, v[54:55]
	v_cndmask_b32_e32 v2, v2, v11, vcc
	v_and_b32_e32 v26, 3, v26
	v_lshlrev_b32_e32 v11, 24, v54
	v_lshl_add_u32 v2, v2, 23, v7
	v_cndmask_b32_e32 v10, v10, v26, vcc
	v_and_or_b32 v2, v11, s65, v2
	v_lshl_or_b32 v2, v10, 21, v2
                                        ; implicit-def: $vgpr10
.LBB4_302:                              ;   in Loop: Header=BB4_282 Depth=3
	s_andn2_saveexec_b64 s[50:51], s[50:51]
; %bb.303:                              ;   in Loop: Header=BB4_282 Depth=3
	v_cmp_gt_i16_sdwa vcc, sext(v54), v47 src0_sel:BYTE_0 src1_sel:DWORD
	v_cndmask_b32_e32 v2, v24, v25, vcc
	v_cmp_eq_u32_e32 vcc, 0, v10
	v_cndmask_b32_e32 v2, v6, v2, vcc
; %bb.304:                              ;   in Loop: Header=BB4_282 Depth=3
	s_or_b64 exec, exec, s[50:51]
.LBB4_305:                              ;   in Loop: Header=BB4_282 Depth=3
	s_or_b64 exec, exec, s[48:49]
.LBB4_306:                              ;   in Loop: Header=BB4_282 Depth=3
	s_or_b64 exec, exec, s[18:19]
	v_mul_f32_e32 v11, v62, v2
	v_and_b32_sdwa v2, v11, s66 dst_sel:DWORD dst_unused:UNUSED_PAD src0_sel:BYTE_3 src1_sel:DWORD
	v_and_b32_e32 v26, 0x7f800000, v11
	v_mov_b32_e32 v27, v55
	v_and_b32_e32 v40, 0x7fffff, v11
	v_mov_b32_e32 v41, v55
	v_or_b32_e32 v10, 0x7b, v2
	v_cmp_ne_u64_e32 vcc, s[38:39], v[26:27]
	s_and_saveexec_b64 s[18:19], vcc
	s_xor_b64 s[48:49], exec, s[18:19]
	s_cbranch_execz .LBB4_316
; %bb.307:                              ;   in Loop: Header=BB4_282 Depth=3
	v_and_b32_e32 v26, 0x7fffffff, v11
	v_mov_b32_e32 v27, v55
	v_cmp_gt_u64_e32 vcc, s[40:41], v[26:27]
	s_and_saveexec_b64 s[50:51], vcc
	s_cbranch_execz .LBB4_315
; %bb.308:                              ;   in Loop: Header=BB4_282 Depth=3
	v_cmp_ne_u32_e32 vcc, 0, v11
	v_mov_b32_e32 v10, 0
	s_and_saveexec_b64 s[52:53], vcc
	s_cbranch_execz .LBB4_314
; %bb.309:                              ;   in Loop: Header=BB4_282 Depth=3
	v_bfe_u32 v10, v11, 23, 8
	v_sub_u32_e32 v26, 0x71, v10
	v_cmp_gt_u32_e32 vcc, s67, v10
	v_cndmask_b32_e32 v26, 0, v26, vcc
	v_cmp_eq_u32_e32 vcc, 0, v10
	v_cndmask_b32_e32 v26, v26, v49, vcc
	v_add_u32_e32 v11, 0xffffff81, v10
	v_add_u32_e32 v10, 21, v26
	v_or_b32_e32 v27, 0x800000, v40
	v_cndmask_b32_e32 v36, v11, v48, vcc
	v_lshlrev_b64 v[10:11], v10, -1
	v_cndmask_b32_e32 v40, v27, v40, vcc
	v_not_b32_e32 v10, v10
	v_and_b32_e32 v10, v40, v10
	v_add_u32_e32 v27, 20, v26
	v_lshrrev_b64 v[40:41], v26, v[40:41]
	v_not_b32_e32 v11, v11
	v_lshlrev_b64 v[50:51], v27, 1
	v_lshrrev_b32_e32 v27, 23, v40
	v_and_b32_e32 v11, 0, v11
	v_add3_u32 v36, v26, v36, v27
	v_bfe_u32 v26, v40, 21, 1
	v_add_u32_e32 v26, -1, v26
	v_cmp_eq_u64_e32 vcc, v[10:11], v[50:51]
	v_cndmask_b32_e32 v10, 0, v26, vcc
	v_add_u32_e32 v10, v10, v40
	v_and_b32_e32 v10, 0x1fffff, v10
	v_add_co_u32_e32 v10, vcc, v10, v40
	v_add_u32_e32 v27, 14, v36
	v_addc_co_u32_e32 v11, vcc, 0, v41, vcc
	v_cmp_ne_u32_e32 vcc, 0, v27
                                        ; implicit-def: $vgpr26
	s_and_saveexec_b64 s[18:19], vcc
	s_xor_b64 s[18:19], exec, s[18:19]
; %bb.310:                              ;   in Loop: Header=BB4_282 Depth=3
	v_add_u32_e32 v26, 15, v36
	v_cmp_lt_u64_e32 vcc, s[42:43], v[10:11]
	v_cndmask_b32_e32 v26, v27, v26, vcc
	v_cndmask_b32_e64 v27, 0, 1, vcc
	v_lshrrev_b64 v[10:11], v27, v[10:11]
; %bb.311:                              ;   in Loop: Header=BB4_282 Depth=3
	s_andn2_saveexec_b64 s[18:19], s[18:19]
; %bb.312:                              ;   in Loop: Header=BB4_282 Depth=3
	v_bfe_u32 v26, v10, 23, 1
; %bb.313:                              ;   in Loop: Header=BB4_282 Depth=3
	s_or_b64 exec, exec, s[18:19]
	v_lshrrev_b64 v[10:11], 21, v[10:11]
	v_cmp_gt_i32_e32 vcc, 32, v26
	v_cndmask_b32_e32 v11, 0, v11, vcc
	v_cndmask_b32_e32 v10, 3, v10, vcc
	v_cmp_eq_u64_e64 s[18:19], 0, v[10:11]
	v_min_i32_e32 v11, 31, v26
	v_cmp_eq_u32_e32 vcc, 0, v26
	v_lshlrev_b32_e32 v11, 2, v11
	v_and_or_b32 v10, v10, 3, v11
	s_and_b64 s[18:19], vcc, s[18:19]
	v_cndmask_b32_e64 v10, v10, 0, s[18:19]
	v_or_b32_e32 v10, v10, v2
.LBB4_314:                              ;   in Loop: Header=BB4_282 Depth=3
	s_or_b64 exec, exec, s[52:53]
.LBB4_315:                              ;   in Loop: Header=BB4_282 Depth=3
	s_or_b64 exec, exec, s[50:51]
                                        ; implicit-def: $vgpr11
                                        ; implicit-def: $vgpr40_vgpr41
.LBB4_316:                              ;   in Loop: Header=BB4_282 Depth=3
	s_andn2_saveexec_b64 s[18:19], s[48:49]
; %bb.317:                              ;   in Loop: Header=BB4_282 Depth=3
	v_or_b32_sdwa v2, v11, s68 dst_sel:DWORD dst_unused:UNUSED_PAD src0_sel:BYTE_3 src1_sel:DWORD
	v_cmp_eq_u64_e32 vcc, 0, v[40:41]
	v_cndmask_b32_e32 v10, v2, v10, vcc
; %bb.318:                              ;   in Loop: Header=BB4_282 Depth=3
	s_or_b64 exec, exec, s[18:19]
	v_lshrrev_b16_e32 v40, 8, v54
	v_cmp_ne_u16_e32 vcc, 0, v40
	v_mov_b32_e32 v2, 0
	s_and_saveexec_b64 s[18:19], vcc
	s_cbranch_execz .LBB4_326
; %bb.319:                              ;   in Loop: Header=BB4_282 Depth=3
	v_cmp_ne_u16_e32 vcc, s66, v40
	v_bfrev_b32_e32 v2, 1
	s_and_saveexec_b64 s[48:49], vcc
	s_cbranch_execz .LBB4_325
; %bb.320:                              ;   in Loop: Header=BB4_282 Depth=3
	v_and_b32_e32 v2, 0x7c, v40
	v_and_b32_e32 v11, 3, v40
	v_cmp_ne_u32_e32 vcc, s64, v2
                                        ; implicit-def: $vgpr2
	s_and_saveexec_b64 s[50:51], vcc
	s_xor_b64 s[50:51], exec, s[50:51]
	s_cbranch_execz .LBB4_322
; %bb.321:                              ;   in Loop: Header=BB4_282 Depth=3
	v_ffbh_u32_e32 v26, v11
	v_min_u32_e32 v36, 32, v26
	v_mov_b32_e32 v41, v55
	v_subrev_u32_e32 v26, 29, v36
	v_bfe_u32 v2, v40, 2, 5
	v_lshlrev_b64 v[26:27], v26, v[40:41]
	v_sub_u32_e32 v27, 30, v36
	v_cmp_eq_u32_e32 vcc, 0, v2
	v_and_b32_e32 v26, 3, v26
	v_cndmask_b32_e32 v2, v2, v27, vcc
	v_cndmask_b32_e32 v11, v11, v26, vcc
	v_lshlrev_b32_e32 v26, 16, v54
	v_lshl_add_u32 v2, v2, 23, v7
	v_and_or_b32 v2, v26, s65, v2
	v_lshl_or_b32 v2, v11, 21, v2
                                        ; implicit-def: $vgpr11
.LBB4_322:                              ;   in Loop: Header=BB4_282 Depth=3
	s_andn2_saveexec_b64 s[50:51], s[50:51]
; %bb.323:                              ;   in Loop: Header=BB4_282 Depth=3
	v_cmp_lt_i16_e32 vcc, -1, v54
	v_cndmask_b32_e32 v2, v24, v25, vcc
	v_cmp_eq_u32_e32 vcc, 0, v11
	v_cndmask_b32_e32 v2, v6, v2, vcc
; %bb.324:                              ;   in Loop: Header=BB4_282 Depth=3
	s_or_b64 exec, exec, s[50:51]
.LBB4_325:                              ;   in Loop: Header=BB4_282 Depth=3
	s_or_b64 exec, exec, s[48:49]
.LBB4_326:                              ;   in Loop: Header=BB4_282 Depth=3
	s_or_b64 exec, exec, s[18:19]
	v_mul_f32_e32 v26, v62, v2
	v_and_b32_sdwa v2, v26, s66 dst_sel:DWORD dst_unused:UNUSED_PAD src0_sel:BYTE_3 src1_sel:DWORD
	v_and_b32_e32 v36, 0x7f800000, v26
	v_mov_b32_e32 v37, v55
	v_and_b32_e32 v40, 0x7fffff, v26
	v_mov_b32_e32 v41, v55
	v_or_b32_e32 v11, 0x7b, v2
	v_cmp_ne_u64_e32 vcc, s[38:39], v[36:37]
	s_and_saveexec_b64 s[18:19], vcc
	s_xor_b64 s[48:49], exec, s[18:19]
	s_cbranch_execz .LBB4_336
; %bb.327:                              ;   in Loop: Header=BB4_282 Depth=3
	v_and_b32_e32 v36, 0x7fffffff, v26
	v_mov_b32_e32 v37, v55
	v_cmp_gt_u64_e32 vcc, s[40:41], v[36:37]
	s_and_saveexec_b64 s[50:51], vcc
	s_cbranch_execz .LBB4_335
; %bb.328:                              ;   in Loop: Header=BB4_282 Depth=3
	v_cmp_ne_u32_e32 vcc, 0, v26
	v_mov_b32_e32 v11, 0
	s_and_saveexec_b64 s[52:53], vcc
	s_cbranch_execz .LBB4_334
; %bb.329:                              ;   in Loop: Header=BB4_282 Depth=3
	v_bfe_u32 v11, v26, 23, 8
	v_sub_u32_e32 v27, 0x71, v11
	v_cmp_gt_u32_e32 vcc, s67, v11
	v_cndmask_b32_e32 v27, 0, v27, vcc
	v_cmp_eq_u32_e32 vcc, 0, v11
	v_add_u32_e32 v26, 0xffffff81, v11
	v_cndmask_b32_e32 v38, v27, v49, vcc
	v_cndmask_b32_e32 v11, v26, v48, vcc
	v_add_u32_e32 v26, 21, v38
	v_or_b32_e32 v36, 0x800000, v40
	v_lshlrev_b64 v[26:27], v26, -1
	v_cndmask_b32_e32 v40, v36, v40, vcc
	v_not_b32_e32 v26, v26
	v_and_b32_e32 v36, v40, v26
	v_add_u32_e32 v26, 20, v38
	v_lshrrev_b64 v[40:41], v38, v[40:41]
	v_not_b32_e32 v27, v27
	v_lshlrev_b64 v[50:51], v26, 1
	v_lshrrev_b32_e32 v26, 23, v40
	v_and_b32_e32 v37, 0, v27
	v_add3_u32 v27, v38, v11, v26
	v_bfe_u32 v11, v40, 21, 1
	v_add_u32_e32 v11, -1, v11
	v_cmp_eq_u64_e32 vcc, v[36:37], v[50:51]
	v_cndmask_b32_e32 v11, 0, v11, vcc
	v_add_u32_e32 v11, v11, v40
	v_and_b32_e32 v11, 0x1fffff, v11
	v_add_co_u32_e32 v40, vcc, v11, v40
	v_add_u32_e32 v26, 14, v27
	v_addc_co_u32_e32 v41, vcc, 0, v41, vcc
	v_cmp_ne_u32_e32 vcc, 0, v26
                                        ; implicit-def: $vgpr11
	s_and_saveexec_b64 s[18:19], vcc
	s_xor_b64 s[18:19], exec, s[18:19]
; %bb.330:                              ;   in Loop: Header=BB4_282 Depth=3
	v_add_u32_e32 v11, 15, v27
	v_cmp_lt_u64_e32 vcc, s[42:43], v[40:41]
	v_cndmask_b32_e32 v11, v26, v11, vcc
	v_cndmask_b32_e64 v26, 0, 1, vcc
	v_lshrrev_b64 v[40:41], v26, v[40:41]
; %bb.331:                              ;   in Loop: Header=BB4_282 Depth=3
	s_andn2_saveexec_b64 s[18:19], s[18:19]
; %bb.332:                              ;   in Loop: Header=BB4_282 Depth=3
	v_bfe_u32 v11, v40, 23, 1
; %bb.333:                              ;   in Loop: Header=BB4_282 Depth=3
	s_or_b64 exec, exec, s[18:19]
	v_lshrrev_b64 v[26:27], 21, v[40:41]
	v_cmp_gt_i32_e32 vcc, 32, v11
	v_cndmask_b32_e32 v27, 0, v27, vcc
	v_cndmask_b32_e32 v26, 3, v26, vcc
	v_cmp_eq_u32_e32 vcc, 0, v11
	v_min_i32_e32 v11, 31, v11
	v_cmp_eq_u64_e64 s[18:19], 0, v[26:27]
	v_lshlrev_b32_e32 v11, 2, v11
	v_and_or_b32 v11, v26, 3, v11
	s_and_b64 s[18:19], vcc, s[18:19]
	v_cndmask_b32_e64 v11, v11, 0, s[18:19]
	v_or_b32_e32 v11, v11, v2
.LBB4_334:                              ;   in Loop: Header=BB4_282 Depth=3
	s_or_b64 exec, exec, s[52:53]
.LBB4_335:                              ;   in Loop: Header=BB4_282 Depth=3
	s_or_b64 exec, exec, s[50:51]
                                        ; implicit-def: $vgpr26
                                        ; implicit-def: $vgpr40_vgpr41
.LBB4_336:                              ;   in Loop: Header=BB4_282 Depth=3
	s_andn2_saveexec_b64 s[18:19], s[48:49]
; %bb.337:                              ;   in Loop: Header=BB4_282 Depth=3
	v_or_b32_sdwa v2, v26, s68 dst_sel:DWORD dst_unused:UNUSED_PAD src0_sel:BYTE_3 src1_sel:DWORD
	v_cmp_eq_u64_e32 vcc, 0, v[40:41]
	v_cndmask_b32_e32 v11, v2, v11, vcc
; %bb.338:                              ;   in Loop: Header=BB4_282 Depth=3
	s_or_b64 exec, exec, s[18:19]
	v_and_b32_sdwa v27, v54, s62 dst_sel:DWORD dst_unused:UNUSED_PAD src0_sel:WORD_1 src1_sel:DWORD
	v_lshrrev_b32_e32 v26, 16, v54
	v_cmp_ne_u16_e32 vcc, 0, v27
	v_mov_b32_e32 v2, 0
	s_and_saveexec_b64 s[18:19], vcc
	s_cbranch_execz .LBB4_346
; %bb.339:                              ;   in Loop: Header=BB4_282 Depth=3
	v_cmp_ne_u16_e32 vcc, s66, v27
	v_bfrev_b32_e32 v2, 1
	s_and_saveexec_b64 s[48:49], vcc
	s_cbranch_execz .LBB4_345
; %bb.340:                              ;   in Loop: Header=BB4_282 Depth=3
	v_and_b32_e32 v2, 0x7c0000, v54
	v_bfe_u32 v27, v54, 16, 2
	v_cmp_ne_u32_e32 vcc, s69, v2
                                        ; implicit-def: $vgpr2
	s_and_saveexec_b64 s[50:51], vcc
	s_xor_b64 s[50:51], exec, s[50:51]
	s_cbranch_execz .LBB4_342
; %bb.341:                              ;   in Loop: Header=BB4_282 Depth=3
	v_ffbh_u32_e32 v36, v27
	v_min_u32_e32 v38, 32, v36
	v_lshrrev_b32_e32 v2, 16, v54
	v_bfe_u32 v26, v54, 18, 5
	v_subrev_u32_e32 v36, 29, v38
	v_lshlrev_b64 v[36:37], v36, v[2:3]
	v_sub_u32_e32 v2, 30, v38
	v_cmp_eq_u32_e32 vcc, 0, v26
	v_and_b32_e32 v36, 3, v36
	v_cndmask_b32_e32 v2, v26, v2, vcc
	v_cndmask_b32_e32 v26, v27, v36, vcc
	v_lshlrev_b32_e32 v27, 8, v54
	v_lshl_add_u32 v2, v2, 23, v7
	v_and_or_b32 v2, v27, s65, v2
	v_lshl_or_b32 v2, v26, 21, v2
                                        ; implicit-def: $vgpr27
                                        ; implicit-def: $vgpr26
.LBB4_342:                              ;   in Loop: Header=BB4_282 Depth=3
	s_andn2_saveexec_b64 s[50:51], s[50:51]
; %bb.343:                              ;   in Loop: Header=BB4_282 Depth=3
	v_cmp_gt_i16_sdwa vcc, sext(v26), v47 src0_sel:BYTE_0 src1_sel:DWORD
	v_cndmask_b32_e32 v2, v24, v25, vcc
	v_cmp_eq_u32_e32 vcc, 0, v27
	v_cndmask_b32_e32 v2, v6, v2, vcc
; %bb.344:                              ;   in Loop: Header=BB4_282 Depth=3
	s_or_b64 exec, exec, s[50:51]
.LBB4_345:                              ;   in Loop: Header=BB4_282 Depth=3
	s_or_b64 exec, exec, s[48:49]
.LBB4_346:                              ;   in Loop: Header=BB4_282 Depth=3
	s_or_b64 exec, exec, s[18:19]
	v_mul_f32_e32 v27, v62, v2
	v_and_b32_sdwa v26, v27, s66 dst_sel:DWORD dst_unused:UNUSED_PAD src0_sel:BYTE_3 src1_sel:DWORD
	v_and_b32_e32 v36, 0x7f800000, v27
	v_mov_b32_e32 v37, v55
	v_and_b32_e32 v40, 0x7fffff, v27
	v_mov_b32_e32 v41, v55
	v_or_b32_e32 v2, 0x7b, v26
	v_cmp_ne_u64_e32 vcc, s[38:39], v[36:37]
	s_and_saveexec_b64 s[18:19], vcc
	s_xor_b64 s[48:49], exec, s[18:19]
	s_cbranch_execz .LBB4_356
; %bb.347:                              ;   in Loop: Header=BB4_282 Depth=3
	v_and_b32_e32 v36, 0x7fffffff, v27
	v_mov_b32_e32 v37, v55
	v_cmp_gt_u64_e32 vcc, s[40:41], v[36:37]
	s_and_saveexec_b64 s[50:51], vcc
	s_cbranch_execz .LBB4_355
; %bb.348:                              ;   in Loop: Header=BB4_282 Depth=3
	v_cmp_ne_u32_e32 vcc, 0, v27
	v_mov_b32_e32 v2, 0
	s_and_saveexec_b64 s[52:53], vcc
	s_cbranch_execz .LBB4_354
; %bb.349:                              ;   in Loop: Header=BB4_282 Depth=3
	v_bfe_u32 v2, v27, 23, 8
	v_sub_u32_e32 v36, 0x71, v2
	v_cmp_gt_u32_e32 vcc, s67, v2
	v_add_u32_e32 v27, 0xffffff81, v2
	v_cndmask_b32_e32 v36, 0, v36, vcc
	v_cmp_eq_u32_e32 vcc, 0, v2
	v_cndmask_b32_e32 v2, v27, v48, vcc
	v_cndmask_b32_e32 v27, v36, v49, vcc
	v_or_b32_e32 v37, 0x800000, v40
	v_add_u32_e32 v36, 21, v27
	v_cndmask_b32_e32 v40, v37, v40, vcc
	v_lshlrev_b64 v[36:37], v36, -1
	v_not_b32_e32 v36, v36
	v_and_b32_e32 v50, v40, v36
	v_add_u32_e32 v36, 20, v27
	v_lshrrev_b64 v[40:41], v27, v[40:41]
	v_not_b32_e32 v37, v37
	v_lshlrev_b64 v[38:39], v36, 1
	v_lshrrev_b32_e32 v36, 23, v40
	v_and_b32_e32 v51, 0, v37
	v_add3_u32 v36, v27, v2, v36
	v_bfe_u32 v2, v40, 21, 1
	v_add_u32_e32 v2, -1, v2
	v_cmp_eq_u64_e32 vcc, v[50:51], v[38:39]
	v_cndmask_b32_e32 v2, 0, v2, vcc
	v_add_u32_e32 v2, v2, v40
	v_and_b32_e32 v2, 0x1fffff, v2
	v_add_co_u32_e32 v40, vcc, v2, v40
	v_add_u32_e32 v27, 14, v36
	v_addc_co_u32_e32 v41, vcc, 0, v41, vcc
	v_cmp_ne_u32_e32 vcc, 0, v27
                                        ; implicit-def: $vgpr2
	s_and_saveexec_b64 s[18:19], vcc
	s_xor_b64 s[18:19], exec, s[18:19]
; %bb.350:                              ;   in Loop: Header=BB4_282 Depth=3
	v_add_u32_e32 v2, 15, v36
	v_cmp_lt_u64_e32 vcc, s[42:43], v[40:41]
	v_cndmask_b32_e32 v2, v27, v2, vcc
	v_cndmask_b32_e64 v27, 0, 1, vcc
	v_lshrrev_b64 v[40:41], v27, v[40:41]
; %bb.351:                              ;   in Loop: Header=BB4_282 Depth=3
	s_andn2_saveexec_b64 s[18:19], s[18:19]
; %bb.352:                              ;   in Loop: Header=BB4_282 Depth=3
	v_bfe_u32 v2, v40, 23, 1
; %bb.353:                              ;   in Loop: Header=BB4_282 Depth=3
	s_or_b64 exec, exec, s[18:19]
	v_lshrrev_b64 v[36:37], 21, v[40:41]
	v_cmp_gt_i32_e32 vcc, 32, v2
	v_cndmask_b32_e32 v37, 0, v37, vcc
	v_cndmask_b32_e32 v36, 3, v36, vcc
	v_cmp_eq_u32_e32 vcc, 0, v2
	v_min_i32_e32 v2, 31, v2
	v_cmp_eq_u64_e64 s[18:19], 0, v[36:37]
	v_lshlrev_b32_e32 v2, 2, v2
	v_and_or_b32 v2, v36, 3, v2
	s_and_b64 s[18:19], vcc, s[18:19]
	v_cndmask_b32_e64 v2, v2, 0, s[18:19]
	v_or_b32_e32 v2, v2, v26
.LBB4_354:                              ;   in Loop: Header=BB4_282 Depth=3
	s_or_b64 exec, exec, s[52:53]
.LBB4_355:                              ;   in Loop: Header=BB4_282 Depth=3
	s_or_b64 exec, exec, s[50:51]
                                        ; implicit-def: $vgpr27
                                        ; implicit-def: $vgpr40_vgpr41
.LBB4_356:                              ;   in Loop: Header=BB4_282 Depth=3
	s_andn2_saveexec_b64 s[18:19], s[48:49]
; %bb.357:                              ;   in Loop: Header=BB4_282 Depth=3
	v_or_b32_sdwa v26, v27, s68 dst_sel:DWORD dst_unused:UNUSED_PAD src0_sel:BYTE_3 src1_sel:DWORD
	v_cmp_eq_u64_e32 vcc, 0, v[40:41]
	v_cndmask_b32_e32 v2, v26, v2, vcc
; %bb.358:                              ;   in Loop: Header=BB4_282 Depth=3
	s_or_b64 exec, exec, s[18:19]
	v_cmp_lt_u32_e32 vcc, s37, v54
	v_mov_b32_e32 v26, 0
	s_and_saveexec_b64 s[18:19], vcc
	s_cbranch_execz .LBB4_366
; %bb.359:                              ;   in Loop: Header=BB4_282 Depth=3
	v_lshrrev_b32_e32 v40, 24, v54
	v_cmp_ne_u32_e32 vcc, s66, v40
	v_bfrev_b32_e32 v26, 1
	s_and_saveexec_b64 s[48:49], vcc
	s_cbranch_execz .LBB4_365
; %bb.360:                              ;   in Loop: Header=BB4_282 Depth=3
	v_and_b32_e32 v26, 0x7c000000, v54
	v_bfe_u32 v27, v54, 24, 2
	v_cmp_ne_u32_e32 vcc, s70, v26
                                        ; implicit-def: $vgpr26
	s_and_saveexec_b64 s[50:51], vcc
	s_xor_b64 s[50:51], exec, s[50:51]
	s_cbranch_execz .LBB4_362
; %bb.361:                              ;   in Loop: Header=BB4_282 Depth=3
	v_ffbh_u32_e32 v36, v27
	v_min_u32_e32 v38, 32, v36
	v_subrev_u32_e32 v36, 29, v38
	v_bfe_u32 v26, v54, 26, 5
	v_lshlrev_b64 v[36:37], v36, v[40:41]
	v_sub_u32_e32 v37, 30, v38
	v_cmp_eq_u32_e32 vcc, 0, v26
	v_cndmask_b32_e32 v26, v26, v37, vcc
	v_and_b32_e32 v36, 3, v36
	v_lshl_add_u32 v26, v26, 23, v7
	v_cndmask_b32_e32 v27, v27, v36, vcc
	v_and_or_b32 v26, v54, s65, v26
	v_lshl_or_b32 v26, v27, 21, v26
                                        ; implicit-def: $vgpr27
.LBB4_362:                              ;   in Loop: Header=BB4_282 Depth=3
	s_andn2_saveexec_b64 s[50:51], s[50:51]
; %bb.363:                              ;   in Loop: Header=BB4_282 Depth=3
	v_cmp_lt_i32_e32 vcc, -1, v54
	v_cndmask_b32_e32 v26, v24, v25, vcc
	v_cmp_eq_u32_e32 vcc, 0, v27
	v_cndmask_b32_e32 v26, v6, v26, vcc
; %bb.364:                              ;   in Loop: Header=BB4_282 Depth=3
	s_or_b64 exec, exec, s[50:51]
.LBB4_365:                              ;   in Loop: Header=BB4_282 Depth=3
	s_or_b64 exec, exec, s[48:49]
.LBB4_366:                              ;   in Loop: Header=BB4_282 Depth=3
	s_or_b64 exec, exec, s[18:19]
	v_mul_f32_e32 v36, v62, v26
	v_and_b32_sdwa v26, v36, s66 dst_sel:DWORD dst_unused:UNUSED_PAD src0_sel:BYTE_3 src1_sel:DWORD
	v_and_b32_e32 v38, 0x7f800000, v36
	v_mov_b32_e32 v39, v55
	v_and_b32_e32 v54, 0x7fffff, v36
	v_or_b32_e32 v27, 0x7b, v26
	v_cmp_ne_u64_e32 vcc, s[38:39], v[38:39]
	s_and_saveexec_b64 s[18:19], vcc
	s_xor_b64 s[48:49], exec, s[18:19]
	s_cbranch_execz .LBB4_376
; %bb.367:                              ;   in Loop: Header=BB4_282 Depth=3
	v_and_b32_e32 v38, 0x7fffffff, v36
	v_mov_b32_e32 v39, v55
	v_cmp_gt_u64_e32 vcc, s[40:41], v[38:39]
	s_and_saveexec_b64 s[50:51], vcc
	s_cbranch_execz .LBB4_375
; %bb.368:                              ;   in Loop: Header=BB4_282 Depth=3
	v_cmp_ne_u32_e32 vcc, 0, v36
	v_mov_b32_e32 v27, 0
	s_and_saveexec_b64 s[52:53], vcc
	s_cbranch_execz .LBB4_374
; %bb.369:                              ;   in Loop: Header=BB4_282 Depth=3
	v_bfe_u32 v27, v36, 23, 8
	v_sub_u32_e32 v37, 0x71, v27
	v_cmp_gt_u32_e32 vcc, s67, v27
	v_cndmask_b32_e32 v37, 0, v37, vcc
	v_cmp_eq_u32_e32 vcc, 0, v27
	v_cndmask_b32_e32 v12, v37, v49, vcc
	v_add_u32_e32 v36, 0xffffff81, v27
	v_add_u32_e32 v13, 21, v12
	v_or_b32_e32 v38, 0x800000, v54
	v_cndmask_b32_e32 v27, v36, v48, vcc
	v_lshlrev_b64 v[36:37], v13, -1
	v_cndmask_b32_e32 v54, v38, v54, vcc
	v_not_b32_e32 v13, v37
	v_and_b32_e32 v39, 0, v13
	v_add_u32_e32 v13, 20, v12
	v_lshrrev_b64 v[40:41], v12, v[54:55]
	v_not_b32_e32 v14, v36
	v_lshlrev_b64 v[50:51], v13, 1
	v_lshrrev_b32_e32 v13, 23, v40
	v_and_b32_e32 v38, v54, v14
	v_add3_u32 v37, v12, v27, v13
	v_bfe_u32 v12, v40, 21, 1
	v_add_u32_e32 v12, -1, v12
	v_cmp_eq_u64_e32 vcc, v[38:39], v[50:51]
	v_cndmask_b32_e32 v12, 0, v12, vcc
	v_add_u32_e32 v12, v12, v40
	v_and_b32_e32 v12, 0x1fffff, v12
	v_add_co_u32_e32 v40, vcc, v12, v40
	v_add_u32_e32 v36, 14, v37
	v_addc_co_u32_e32 v41, vcc, 0, v41, vcc
	v_cmp_ne_u32_e32 vcc, 0, v36
                                        ; implicit-def: $vgpr27
	s_and_saveexec_b64 s[18:19], vcc
	s_xor_b64 s[18:19], exec, s[18:19]
; %bb.370:                              ;   in Loop: Header=BB4_282 Depth=3
	v_add_u32_e32 v12, 15, v37
	v_cmp_lt_u64_e32 vcc, s[42:43], v[40:41]
	v_cndmask_b32_e32 v27, v36, v12, vcc
	v_cndmask_b32_e64 v12, 0, 1, vcc
	v_lshrrev_b64 v[40:41], v12, v[40:41]
; %bb.371:                              ;   in Loop: Header=BB4_282 Depth=3
	s_andn2_saveexec_b64 s[18:19], s[18:19]
; %bb.372:                              ;   in Loop: Header=BB4_282 Depth=3
	v_bfe_u32 v27, v40, 23, 1
; %bb.373:                              ;   in Loop: Header=BB4_282 Depth=3
	s_or_b64 exec, exec, s[18:19]
	v_lshrrev_b64 v[36:37], 21, v[40:41]
	v_cmp_gt_i32_e32 vcc, 32, v27
	v_cndmask_b32_e32 v37, 0, v37, vcc
	v_cndmask_b32_e32 v36, 3, v36, vcc
	v_min_i32_e32 v12, 31, v27
	v_cmp_eq_u32_e32 vcc, 0, v27
	v_cmp_eq_u64_e64 s[18:19], 0, v[36:37]
	v_lshlrev_b32_e32 v12, 2, v12
	v_and_or_b32 v12, v36, 3, v12
	s_and_b64 s[18:19], vcc, s[18:19]
	v_cndmask_b32_e64 v12, v12, 0, s[18:19]
	v_or_b32_e32 v27, v12, v26
.LBB4_374:                              ;   in Loop: Header=BB4_282 Depth=3
	s_or_b64 exec, exec, s[52:53]
.LBB4_375:                              ;   in Loop: Header=BB4_282 Depth=3
	s_or_b64 exec, exec, s[50:51]
                                        ; implicit-def: $vgpr36
.LBB4_376:                              ;   in Loop: Header=BB4_282 Depth=3
	s_andn2_saveexec_b64 s[18:19], s[48:49]
; %bb.377:                              ;   in Loop: Header=BB4_282 Depth=3
	v_or_b32_sdwa v26, v36, s68 dst_sel:DWORD dst_unused:UNUSED_PAD src0_sel:BYTE_3 src1_sel:DWORD
	v_cmp_eq_u64_e32 vcc, 0, v[54:55]
	v_cndmask_b32_e32 v27, v26, v27, vcc
; %bb.378:                              ;   in Loop: Header=BB4_282 Depth=3
	s_or_b64 exec, exec, s[18:19]
	v_alignbit_b32 v54, v22, v23, v1
	v_cmp_ne_u16_sdwa vcc, v54, v55 src0_sel:BYTE_0 src1_sel:DWORD
	v_mov_b32_e32 v1, 0
	s_and_saveexec_b64 s[18:19], vcc
	s_cbranch_execz .LBB4_386
; %bb.379:                              ;   in Loop: Header=BB4_282 Depth=3
	v_cmp_ne_u16_sdwa vcc, sext(v54), s63 src0_sel:BYTE_0 src1_sel:DWORD
	v_bfrev_b32_e32 v1, 1
	s_and_saveexec_b64 s[48:49], vcc
	s_cbranch_execz .LBB4_385
; %bb.380:                              ;   in Loop: Header=BB4_282 Depth=3
	v_and_b32_e32 v1, 0x7c, v54
	v_and_b32_e32 v22, 3, v54
	v_cmp_ne_u32_e32 vcc, s64, v1
                                        ; implicit-def: $vgpr1
	s_and_saveexec_b64 s[50:51], vcc
	s_xor_b64 s[50:51], exec, s[50:51]
	s_cbranch_execz .LBB4_382
; %bb.381:                              ;   in Loop: Header=BB4_282 Depth=3
	v_ffbh_u32_e32 v12, v22
	v_min_u32_e32 v12, 32, v12
	v_bfe_u32 v1, v54, 2, 5
	v_subrev_u32_e32 v13, 29, v12
	v_lshlrev_b64 v[36:37], v13, v[54:55]
	v_sub_u32_e32 v12, 30, v12
	v_cmp_eq_u32_e32 vcc, 0, v1
	v_and_b32_e32 v13, 3, v36
	v_cndmask_b32_e32 v1, v1, v12, vcc
	v_cndmask_b32_e32 v12, v22, v13, vcc
	v_lshlrev_b32_e32 v13, 24, v54
	v_lshl_add_u32 v1, v1, 23, v7
	v_and_or_b32 v1, v13, s65, v1
	v_lshl_or_b32 v1, v12, 21, v1
                                        ; implicit-def: $vgpr22
.LBB4_382:                              ;   in Loop: Header=BB4_282 Depth=3
	s_andn2_saveexec_b64 s[50:51], s[50:51]
; %bb.383:                              ;   in Loop: Header=BB4_282 Depth=3
	v_cmp_gt_i16_sdwa vcc, sext(v54), v47 src0_sel:BYTE_0 src1_sel:DWORD
	v_cndmask_b32_e32 v1, v24, v25, vcc
	v_cmp_eq_u32_e32 vcc, 0, v22
	v_cndmask_b32_e32 v1, v6, v1, vcc
; %bb.384:                              ;   in Loop: Header=BB4_282 Depth=3
	s_or_b64 exec, exec, s[50:51]
.LBB4_385:                              ;   in Loop: Header=BB4_282 Depth=3
	s_or_b64 exec, exec, s[48:49]
.LBB4_386:                              ;   in Loop: Header=BB4_282 Depth=3
	s_or_b64 exec, exec, s[18:19]
	v_mul_f32_e32 v22, v62, v1
	v_and_b32_sdwa v1, v22, s66 dst_sel:DWORD dst_unused:UNUSED_PAD src0_sel:BYTE_3 src1_sel:DWORD
	v_and_b32_e32 v36, 0x7f800000, v22
	v_mov_b32_e32 v37, v55
	v_and_b32_e32 v40, 0x7fffff, v22
	v_mov_b32_e32 v41, v55
	v_or_b32_e32 v26, 0x7b, v1
	v_cmp_ne_u64_e32 vcc, s[38:39], v[36:37]
	s_and_saveexec_b64 s[18:19], vcc
	s_xor_b64 s[48:49], exec, s[18:19]
	s_cbranch_execz .LBB4_396
; %bb.387:                              ;   in Loop: Header=BB4_282 Depth=3
	v_and_b32_e32 v36, 0x7fffffff, v22
	v_mov_b32_e32 v37, v55
	v_cmp_gt_u64_e32 vcc, s[40:41], v[36:37]
	s_and_saveexec_b64 s[50:51], vcc
	s_cbranch_execz .LBB4_395
; %bb.388:                              ;   in Loop: Header=BB4_282 Depth=3
	v_cmp_ne_u32_e32 vcc, 0, v22
	v_mov_b32_e32 v26, 0
	s_and_saveexec_b64 s[52:53], vcc
	s_cbranch_execz .LBB4_394
; %bb.389:                              ;   in Loop: Header=BB4_282 Depth=3
	v_bfe_u32 v12, v22, 23, 8
	v_sub_u32_e32 v14, 0x71, v12
	v_cmp_gt_u32_e32 vcc, s67, v12
	v_add_u32_e32 v13, 0xffffff81, v12
	v_cndmask_b32_e32 v14, 0, v14, vcc
	v_cmp_eq_u32_e32 vcc, 0, v12
	v_cndmask_b32_e32 v12, v13, v48, vcc
	v_cndmask_b32_e32 v13, v14, v49, vcc
	v_add_u32_e32 v14, 21, v13
	v_or_b32_e32 v15, 0x800000, v40
	v_lshlrev_b64 v[22:23], v14, -1
	v_cndmask_b32_e32 v40, v15, v40, vcc
	v_not_b32_e32 v14, v23
	v_and_b32_e32 v37, 0, v14
	v_add_u32_e32 v14, 20, v13
	v_lshrrev_b64 v[50:51], v13, v[40:41]
	v_not_b32_e32 v15, v22
	v_lshlrev_b64 v[38:39], v14, 1
	v_lshrrev_b32_e32 v14, 23, v50
	v_and_b32_e32 v36, v40, v15
	v_add3_u32 v26, v13, v12, v14
	v_bfe_u32 v12, v50, 21, 1
	v_add_u32_e32 v12, -1, v12
	v_cmp_eq_u64_e32 vcc, v[36:37], v[38:39]
	v_cndmask_b32_e32 v12, 0, v12, vcc
	v_add_u32_e32 v12, v12, v50
	v_and_b32_e32 v12, 0x1fffff, v12
	v_add_co_u32_e32 v40, vcc, v12, v50
	v_add_u32_e32 v23, 14, v26
	v_addc_co_u32_e32 v41, vcc, 0, v51, vcc
	v_cmp_ne_u32_e32 vcc, 0, v23
                                        ; implicit-def: $vgpr22
	s_and_saveexec_b64 s[18:19], vcc
	s_xor_b64 s[18:19], exec, s[18:19]
; %bb.390:                              ;   in Loop: Header=BB4_282 Depth=3
	v_add_u32_e32 v12, 15, v26
	v_cmp_lt_u64_e32 vcc, s[42:43], v[40:41]
	v_cndmask_b32_e32 v22, v23, v12, vcc
	v_cndmask_b32_e64 v12, 0, 1, vcc
	v_lshrrev_b64 v[40:41], v12, v[40:41]
; %bb.391:                              ;   in Loop: Header=BB4_282 Depth=3
	s_andn2_saveexec_b64 s[18:19], s[18:19]
; %bb.392:                              ;   in Loop: Header=BB4_282 Depth=3
	v_bfe_u32 v22, v40, 23, 1
; %bb.393:                              ;   in Loop: Header=BB4_282 Depth=3
	s_or_b64 exec, exec, s[18:19]
	v_lshrrev_b64 v[36:37], 21, v[40:41]
	v_cmp_gt_i32_e32 vcc, 32, v22
	v_cndmask_b32_e32 v37, 0, v37, vcc
	v_cndmask_b32_e32 v36, 3, v36, vcc
	v_min_i32_e32 v12, 31, v22
	v_cmp_eq_u32_e32 vcc, 0, v22
	v_cmp_eq_u64_e64 s[18:19], 0, v[36:37]
	v_lshlrev_b32_e32 v12, 2, v12
	v_and_or_b32 v12, v36, 3, v12
	s_and_b64 s[18:19], vcc, s[18:19]
	v_cndmask_b32_e64 v12, v12, 0, s[18:19]
	v_or_b32_e32 v26, v12, v1
.LBB4_394:                              ;   in Loop: Header=BB4_282 Depth=3
	s_or_b64 exec, exec, s[52:53]
.LBB4_395:                              ;   in Loop: Header=BB4_282 Depth=3
	s_or_b64 exec, exec, s[50:51]
                                        ; implicit-def: $vgpr22
                                        ; implicit-def: $vgpr40_vgpr41
.LBB4_396:                              ;   in Loop: Header=BB4_282 Depth=3
	s_andn2_saveexec_b64 s[18:19], s[48:49]
; %bb.397:                              ;   in Loop: Header=BB4_282 Depth=3
	v_or_b32_sdwa v1, v22, s68 dst_sel:DWORD dst_unused:UNUSED_PAD src0_sel:BYTE_3 src1_sel:DWORD
	v_cmp_eq_u64_e32 vcc, 0, v[40:41]
	v_cndmask_b32_e32 v26, v1, v26, vcc
; %bb.398:                              ;   in Loop: Header=BB4_282 Depth=3
	s_or_b64 exec, exec, s[18:19]
	v_lshrrev_b16_e32 v40, 8, v54
	v_cmp_ne_u16_e32 vcc, 0, v40
	v_mov_b32_e32 v1, 0
	s_and_saveexec_b64 s[18:19], vcc
	s_cbranch_execz .LBB4_406
; %bb.399:                              ;   in Loop: Header=BB4_282 Depth=3
	v_cmp_ne_u16_e32 vcc, s66, v40
	v_bfrev_b32_e32 v1, 1
	s_and_saveexec_b64 s[48:49], vcc
	s_cbranch_execz .LBB4_405
; %bb.400:                              ;   in Loop: Header=BB4_282 Depth=3
	v_and_b32_e32 v1, 0x7c, v40
	v_and_b32_e32 v22, 3, v40
	v_cmp_ne_u32_e32 vcc, s64, v1
                                        ; implicit-def: $vgpr1
	s_and_saveexec_b64 s[50:51], vcc
	s_xor_b64 s[50:51], exec, s[50:51]
	s_cbranch_execz .LBB4_402
; %bb.401:                              ;   in Loop: Header=BB4_282 Depth=3
	v_ffbh_u32_e32 v12, v22
	v_min_u32_e32 v12, 32, v12
	v_mov_b32_e32 v41, v55
	v_bfe_u32 v1, v40, 2, 5
	v_subrev_u32_e32 v13, 29, v12
	v_lshlrev_b64 v[36:37], v13, v[40:41]
	v_sub_u32_e32 v12, 30, v12
	v_cmp_eq_u32_e32 vcc, 0, v1
	v_and_b32_e32 v13, 3, v36
	v_cndmask_b32_e32 v1, v1, v12, vcc
	v_cndmask_b32_e32 v12, v22, v13, vcc
	v_lshlrev_b32_e32 v13, 16, v54
	v_lshl_add_u32 v1, v1, 23, v7
	v_and_or_b32 v1, v13, s65, v1
	v_lshl_or_b32 v1, v12, 21, v1
                                        ; implicit-def: $vgpr22
.LBB4_402:                              ;   in Loop: Header=BB4_282 Depth=3
	s_andn2_saveexec_b64 s[50:51], s[50:51]
; %bb.403:                              ;   in Loop: Header=BB4_282 Depth=3
	v_cmp_lt_i16_e32 vcc, -1, v54
	v_cndmask_b32_e32 v1, v24, v25, vcc
	v_cmp_eq_u32_e32 vcc, 0, v22
	v_cndmask_b32_e32 v1, v6, v1, vcc
; %bb.404:                              ;   in Loop: Header=BB4_282 Depth=3
	s_or_b64 exec, exec, s[50:51]
.LBB4_405:                              ;   in Loop: Header=BB4_282 Depth=3
	s_or_b64 exec, exec, s[48:49]
.LBB4_406:                              ;   in Loop: Header=BB4_282 Depth=3
	s_or_b64 exec, exec, s[18:19]
	v_mul_f32_e32 v23, v62, v1
	v_and_b32_sdwa v1, v23, s66 dst_sel:DWORD dst_unused:UNUSED_PAD src0_sel:BYTE_3 src1_sel:DWORD
	v_and_b32_e32 v36, 0x7f800000, v23
	v_mov_b32_e32 v37, v55
	v_and_b32_e32 v40, 0x7fffff, v23
	v_mov_b32_e32 v41, v55
	v_or_b32_e32 v22, 0x7b, v1
	v_cmp_ne_u64_e32 vcc, s[38:39], v[36:37]
	s_and_saveexec_b64 s[18:19], vcc
	s_xor_b64 s[48:49], exec, s[18:19]
	s_cbranch_execz .LBB4_416
; %bb.407:                              ;   in Loop: Header=BB4_282 Depth=3
	v_and_b32_e32 v36, 0x7fffffff, v23
	v_mov_b32_e32 v37, v55
	v_cmp_gt_u64_e32 vcc, s[40:41], v[36:37]
	s_and_saveexec_b64 s[50:51], vcc
	s_cbranch_execz .LBB4_415
; %bb.408:                              ;   in Loop: Header=BB4_282 Depth=3
	v_cmp_ne_u32_e32 vcc, 0, v23
	v_mov_b32_e32 v22, 0
	s_and_saveexec_b64 s[52:53], vcc
	s_cbranch_execz .LBB4_414
; %bb.409:                              ;   in Loop: Header=BB4_282 Depth=3
	v_bfe_u32 v12, v23, 23, 8
	v_sub_u32_e32 v14, 0x71, v12
	v_cmp_gt_u32_e32 vcc, s67, v12
	v_add_u32_e32 v13, 0xffffff81, v12
	v_cndmask_b32_e32 v14, 0, v14, vcc
	v_cmp_eq_u32_e32 vcc, 0, v12
	v_cndmask_b32_e32 v12, v13, v48, vcc
	v_cndmask_b32_e32 v13, v14, v49, vcc
	v_add_u32_e32 v14, 21, v13
	v_or_b32_e32 v15, 0x800000, v40
	v_lshlrev_b64 v[22:23], v14, -1
	v_cndmask_b32_e32 v40, v15, v40, vcc
	v_not_b32_e32 v14, v23
	v_not_b32_e32 v15, v22
	v_and_b32_e32 v39, 0, v14
	v_and_b32_e32 v38, v40, v15
	v_add_u32_e32 v14, 20, v13
	v_lshrrev_b64 v[40:41], v13, v[40:41]
	v_lshlrev_b64 v[50:51], v14, 1
	v_lshrrev_b32_e32 v14, 23, v40
	v_add3_u32 v36, v13, v12, v14
	v_bfe_u32 v12, v40, 21, 1
	v_add_u32_e32 v12, -1, v12
	v_cmp_eq_u64_e32 vcc, v[38:39], v[50:51]
	v_cndmask_b32_e32 v12, 0, v12, vcc
	v_add_u32_e32 v12, v12, v40
	v_and_b32_e32 v12, 0x1fffff, v12
	v_add_co_u32_e32 v40, vcc, v12, v40
	v_add_u32_e32 v23, 14, v36
	v_addc_co_u32_e32 v41, vcc, 0, v41, vcc
	v_cmp_ne_u32_e32 vcc, 0, v23
                                        ; implicit-def: $vgpr22
	s_and_saveexec_b64 s[18:19], vcc
	s_xor_b64 s[18:19], exec, s[18:19]
; %bb.410:                              ;   in Loop: Header=BB4_282 Depth=3
	v_add_u32_e32 v12, 15, v36
	v_cmp_lt_u64_e32 vcc, s[42:43], v[40:41]
	v_cndmask_b32_e32 v22, v23, v12, vcc
	v_cndmask_b32_e64 v12, 0, 1, vcc
	v_lshrrev_b64 v[40:41], v12, v[40:41]
; %bb.411:                              ;   in Loop: Header=BB4_282 Depth=3
	s_andn2_saveexec_b64 s[18:19], s[18:19]
; %bb.412:                              ;   in Loop: Header=BB4_282 Depth=3
	v_bfe_u32 v22, v40, 23, 1
; %bb.413:                              ;   in Loop: Header=BB4_282 Depth=3
	s_or_b64 exec, exec, s[18:19]
	v_lshrrev_b64 v[36:37], 21, v[40:41]
	v_cmp_gt_i32_e32 vcc, 32, v22
	v_cndmask_b32_e32 v37, 0, v37, vcc
	v_cndmask_b32_e32 v36, 3, v36, vcc
	v_min_i32_e32 v12, 31, v22
	v_cmp_eq_u32_e32 vcc, 0, v22
	v_cmp_eq_u64_e64 s[18:19], 0, v[36:37]
	v_lshlrev_b32_e32 v12, 2, v12
	v_and_or_b32 v12, v36, 3, v12
	s_and_b64 s[18:19], vcc, s[18:19]
	v_cndmask_b32_e64 v12, v12, 0, s[18:19]
	v_or_b32_e32 v22, v12, v1
.LBB4_414:                              ;   in Loop: Header=BB4_282 Depth=3
	s_or_b64 exec, exec, s[52:53]
.LBB4_415:                              ;   in Loop: Header=BB4_282 Depth=3
	s_or_b64 exec, exec, s[50:51]
                                        ; implicit-def: $vgpr23
                                        ; implicit-def: $vgpr40_vgpr41
.LBB4_416:                              ;   in Loop: Header=BB4_282 Depth=3
	s_andn2_saveexec_b64 s[18:19], s[48:49]
; %bb.417:                              ;   in Loop: Header=BB4_282 Depth=3
	v_or_b32_sdwa v1, v23, s68 dst_sel:DWORD dst_unused:UNUSED_PAD src0_sel:BYTE_3 src1_sel:DWORD
	v_cmp_eq_u64_e32 vcc, 0, v[40:41]
	v_cndmask_b32_e32 v22, v1, v22, vcc
; %bb.418:                              ;   in Loop: Header=BB4_282 Depth=3
	s_or_b64 exec, exec, s[18:19]
	v_and_b32_sdwa v23, v54, s62 dst_sel:DWORD dst_unused:UNUSED_PAD src0_sel:WORD_1 src1_sel:DWORD
	v_lshrrev_b32_e32 v40, 16, v54
	v_cmp_ne_u16_e32 vcc, 0, v23
	v_mov_b32_e32 v1, 0
	s_and_saveexec_b64 s[18:19], vcc
	s_cbranch_execz .LBB4_426
; %bb.419:                              ;   in Loop: Header=BB4_282 Depth=3
	v_cmp_ne_u16_e32 vcc, s66, v23
	v_bfrev_b32_e32 v1, 1
	s_and_saveexec_b64 s[48:49], vcc
	s_cbranch_execz .LBB4_425
; %bb.420:                              ;   in Loop: Header=BB4_282 Depth=3
	v_and_b32_e32 v1, 0x7c0000, v54
	v_bfe_u32 v23, v54, 16, 2
	v_cmp_ne_u32_e32 vcc, s69, v1
                                        ; implicit-def: $vgpr1
	s_and_saveexec_b64 s[50:51], vcc
	s_xor_b64 s[50:51], exec, s[50:51]
	s_cbranch_execz .LBB4_422
; %bb.421:                              ;   in Loop: Header=BB4_282 Depth=3
	v_ffbh_u32_e32 v12, v23
	v_min_u32_e32 v12, 32, v12
	v_bfe_u32 v1, v54, 18, 5
	v_subrev_u32_e32 v13, 29, v12
	v_lshlrev_b64 v[36:37], v13, v[40:41]
	v_sub_u32_e32 v12, 30, v12
	v_cmp_eq_u32_e32 vcc, 0, v1
	v_and_b32_e32 v13, 3, v36
	v_cndmask_b32_e32 v1, v1, v12, vcc
	v_cndmask_b32_e32 v12, v23, v13, vcc
	v_lshlrev_b32_e32 v13, 8, v54
	v_lshl_add_u32 v1, v1, 23, v7
	v_and_or_b32 v1, v13, s65, v1
	v_lshl_or_b32 v1, v12, 21, v1
                                        ; implicit-def: $vgpr23
                                        ; implicit-def: $vgpr40
.LBB4_422:                              ;   in Loop: Header=BB4_282 Depth=3
	s_andn2_saveexec_b64 s[50:51], s[50:51]
; %bb.423:                              ;   in Loop: Header=BB4_282 Depth=3
	v_cmp_gt_i16_sdwa vcc, sext(v40), v47 src0_sel:BYTE_0 src1_sel:DWORD
	v_cndmask_b32_e32 v1, v24, v25, vcc
	v_cmp_eq_u32_e32 vcc, 0, v23
	v_cndmask_b32_e32 v1, v6, v1, vcc
; %bb.424:                              ;   in Loop: Header=BB4_282 Depth=3
	s_or_b64 exec, exec, s[50:51]
.LBB4_425:                              ;   in Loop: Header=BB4_282 Depth=3
	s_or_b64 exec, exec, s[48:49]
.LBB4_426:                              ;   in Loop: Header=BB4_282 Depth=3
	s_or_b64 exec, exec, s[18:19]
	v_mul_f32_e32 v36, v62, v1
	v_and_b32_sdwa v23, v36, s66 dst_sel:DWORD dst_unused:UNUSED_PAD src0_sel:BYTE_3 src1_sel:DWORD
	v_and_b32_e32 v38, 0x7f800000, v36
	v_mov_b32_e32 v39, v55
	v_and_b32_e32 v40, 0x7fffff, v36
	v_mov_b32_e32 v41, v55
	v_or_b32_e32 v1, 0x7b, v23
	v_cmp_ne_u64_e32 vcc, s[38:39], v[38:39]
	s_and_saveexec_b64 s[18:19], vcc
	s_xor_b64 s[48:49], exec, s[18:19]
	s_cbranch_execz .LBB4_436
; %bb.427:                              ;   in Loop: Header=BB4_282 Depth=3
	v_and_b32_e32 v38, 0x7fffffff, v36
	v_mov_b32_e32 v39, v55
	v_cmp_gt_u64_e32 vcc, s[40:41], v[38:39]
	s_and_saveexec_b64 s[50:51], vcc
	s_cbranch_execz .LBB4_435
; %bb.428:                              ;   in Loop: Header=BB4_282 Depth=3
	v_cmp_ne_u32_e32 vcc, 0, v36
	v_mov_b32_e32 v1, 0
	s_and_saveexec_b64 s[52:53], vcc
	s_cbranch_execz .LBB4_434
; %bb.429:                              ;   in Loop: Header=BB4_282 Depth=3
	v_bfe_u32 v1, v36, 23, 8
	v_sub_u32_e32 v13, 0x71, v1
	v_cmp_gt_u32_e32 vcc, s67, v1
	v_add_u32_e32 v12, 0xffffff81, v1
	v_cndmask_b32_e32 v13, 0, v13, vcc
	v_cmp_eq_u32_e32 vcc, 0, v1
	v_cndmask_b32_e32 v1, v12, v48, vcc
	v_cndmask_b32_e32 v12, v13, v49, vcc
	v_add_u32_e32 v13, 21, v12
	v_or_b32_e32 v14, 0x800000, v40
	v_lshlrev_b64 v[36:37], v13, -1
	v_cndmask_b32_e32 v40, v14, v40, vcc
	v_not_b32_e32 v13, v37
	v_not_b32_e32 v14, v36
	v_and_b32_e32 v39, 0, v13
	v_and_b32_e32 v38, v40, v14
	v_add_u32_e32 v13, 20, v12
	v_lshrrev_b64 v[40:41], v12, v[40:41]
	v_lshlrev_b64 v[50:51], v13, 1
	v_lshrrev_b32_e32 v13, 23, v40
	v_add3_u32 v37, v12, v1, v13
	v_bfe_u32 v1, v40, 21, 1
	v_add_u32_e32 v1, -1, v1
	v_cmp_eq_u64_e32 vcc, v[38:39], v[50:51]
	v_cndmask_b32_e32 v1, 0, v1, vcc
	v_add_u32_e32 v1, v1, v40
	v_and_b32_e32 v1, 0x1fffff, v1
	v_add_co_u32_e32 v40, vcc, v1, v40
	v_add_u32_e32 v36, 14, v37
	v_addc_co_u32_e32 v41, vcc, 0, v41, vcc
	v_cmp_ne_u32_e32 vcc, 0, v36
                                        ; implicit-def: $vgpr1
	s_and_saveexec_b64 s[18:19], vcc
	s_xor_b64 s[18:19], exec, s[18:19]
; %bb.430:                              ;   in Loop: Header=BB4_282 Depth=3
	v_cmp_lt_u64_e32 vcc, s[42:43], v[40:41]
	v_add_u32_e32 v1, 15, v37
	v_cndmask_b32_e64 v12, 0, 1, vcc
	v_cndmask_b32_e32 v1, v36, v1, vcc
	v_lshrrev_b64 v[40:41], v12, v[40:41]
; %bb.431:                              ;   in Loop: Header=BB4_282 Depth=3
	s_andn2_saveexec_b64 s[18:19], s[18:19]
; %bb.432:                              ;   in Loop: Header=BB4_282 Depth=3
	v_bfe_u32 v1, v40, 23, 1
; %bb.433:                              ;   in Loop: Header=BB4_282 Depth=3
	s_or_b64 exec, exec, s[18:19]
	v_lshrrev_b64 v[36:37], 21, v[40:41]
	v_cmp_gt_i32_e32 vcc, 32, v1
	v_cndmask_b32_e32 v37, 0, v37, vcc
	v_cndmask_b32_e32 v36, 3, v36, vcc
	v_cmp_eq_u32_e32 vcc, 0, v1
	v_min_i32_e32 v1, 31, v1
	v_lshlrev_b32_e32 v1, 2, v1
	v_cmp_eq_u64_e64 s[18:19], 0, v[36:37]
	v_and_b32_e32 v1, 0xfc, v1
	v_and_or_b32 v1, v36, 3, v1
	s_and_b64 s[18:19], vcc, s[18:19]
	v_cndmask_b32_e64 v1, v1, 0, s[18:19]
	v_or_b32_e32 v1, v1, v23
.LBB4_434:                              ;   in Loop: Header=BB4_282 Depth=3
	s_or_b64 exec, exec, s[52:53]
.LBB4_435:                              ;   in Loop: Header=BB4_282 Depth=3
	s_or_b64 exec, exec, s[50:51]
                                        ; implicit-def: $vgpr36
                                        ; implicit-def: $vgpr40_vgpr41
.LBB4_436:                              ;   in Loop: Header=BB4_282 Depth=3
	s_andn2_saveexec_b64 s[18:19], s[48:49]
; %bb.437:                              ;   in Loop: Header=BB4_282 Depth=3
	v_or_b32_sdwa v12, v36, s68 dst_sel:DWORD dst_unused:UNUSED_PAD src0_sel:BYTE_3 src1_sel:DWORD
	v_cmp_eq_u64_e32 vcc, 0, v[40:41]
	v_cndmask_b32_e32 v1, v12, v1, vcc
; %bb.438:                              ;   in Loop: Header=BB4_282 Depth=3
	s_or_b64 exec, exec, s[18:19]
	v_cmp_lt_u32_e32 vcc, s37, v54
	v_mov_b32_e32 v23, 0
	s_and_saveexec_b64 s[18:19], vcc
	s_cbranch_execz .LBB4_446
; %bb.439:                              ;   in Loop: Header=BB4_282 Depth=3
	v_lshrrev_b32_e32 v40, 24, v54
	v_cmp_ne_u32_e32 vcc, s66, v40
	v_bfrev_b32_e32 v23, 1
	s_and_saveexec_b64 s[48:49], vcc
	s_cbranch_execz .LBB4_445
; %bb.440:                              ;   in Loop: Header=BB4_282 Depth=3
	v_and_b32_e32 v12, 0x7c000000, v54
	v_bfe_u32 v36, v54, 24, 2
	v_cmp_ne_u32_e32 vcc, s70, v12
                                        ; implicit-def: $vgpr23
	s_and_saveexec_b64 s[50:51], vcc
	s_xor_b64 s[50:51], exec, s[50:51]
	s_cbranch_execz .LBB4_442
; %bb.441:                              ;   in Loop: Header=BB4_282 Depth=3
	v_ffbh_u32_e32 v13, v36
	v_bfe_u32 v12, v54, 26, 5
	v_min_u32_e32 v13, 32, v13
	v_subrev_u32_e32 v14, 29, v13
	v_sub_u32_e32 v13, 30, v13
	v_cmp_eq_u32_e32 vcc, 0, v12
	v_lshlrev_b64 v[38:39], v14, v[40:41]
	v_cndmask_b32_e32 v12, v12, v13, vcc
	v_and_b32_e32 v14, 3, v38
	v_lshl_add_u32 v12, v12, 23, v7
	v_cndmask_b32_e32 v13, v36, v14, vcc
	v_and_or_b32 v12, v54, s65, v12
	v_lshl_or_b32 v23, v13, 21, v12
                                        ; implicit-def: $vgpr36
.LBB4_442:                              ;   in Loop: Header=BB4_282 Depth=3
	s_andn2_saveexec_b64 s[50:51], s[50:51]
; %bb.443:                              ;   in Loop: Header=BB4_282 Depth=3
	v_cmp_lt_i32_e32 vcc, -1, v54
	v_cndmask_b32_e32 v12, v24, v25, vcc
	v_cmp_eq_u32_e32 vcc, 0, v36
	v_cndmask_b32_e32 v23, v6, v12, vcc
; %bb.444:                              ;   in Loop: Header=BB4_282 Depth=3
	s_or_b64 exec, exec, s[50:51]
.LBB4_445:                              ;   in Loop: Header=BB4_282 Depth=3
	s_or_b64 exec, exec, s[48:49]
.LBB4_446:                              ;   in Loop: Header=BB4_282 Depth=3
	s_or_b64 exec, exec, s[18:19]
	v_mul_f32_e32 v37, v62, v23
	v_and_b32_sdwa v23, v37, s66 dst_sel:DWORD dst_unused:UNUSED_PAD src0_sel:BYTE_3 src1_sel:DWORD
	v_and_b32_e32 v38, 0x7f800000, v37
	v_mov_b32_e32 v39, v55
	v_and_b32_e32 v54, 0x7fffff, v37
	v_or_b32_e32 v36, 0x7b, v23
	v_cmp_ne_u64_e32 vcc, s[38:39], v[38:39]
	s_and_saveexec_b64 s[18:19], vcc
	s_xor_b64 s[48:49], exec, s[18:19]
	s_cbranch_execz .LBB4_456
; %bb.447:                              ;   in Loop: Header=BB4_282 Depth=3
	v_and_b32_e32 v38, 0x7fffffff, v37
	v_mov_b32_e32 v39, v55
	v_cmp_gt_u64_e32 vcc, s[40:41], v[38:39]
	s_and_saveexec_b64 s[50:51], vcc
	s_cbranch_execz .LBB4_455
; %bb.448:                              ;   in Loop: Header=BB4_282 Depth=3
	v_cmp_ne_u32_e32 vcc, 0, v37
	v_mov_b32_e32 v36, 0
	s_and_saveexec_b64 s[52:53], vcc
	s_cbranch_execz .LBB4_454
; %bb.449:                              ;   in Loop: Header=BB4_282 Depth=3
	v_bfe_u32 v12, v37, 23, 8
	v_sub_u32_e32 v14, 0x71, v12
	v_cmp_gt_u32_e32 vcc, s67, v12
	v_add_u32_e32 v13, 0xffffff81, v12
	v_cndmask_b32_e32 v14, 0, v14, vcc
	v_cmp_eq_u32_e32 vcc, 0, v12
	v_cndmask_b32_e32 v12, v13, v48, vcc
	v_cndmask_b32_e32 v13, v14, v49, vcc
	v_add_u32_e32 v14, 21, v13
	v_or_b32_e32 v15, 0x800000, v54
	v_lshlrev_b64 v[36:37], v14, -1
	v_cndmask_b32_e32 v54, v15, v54, vcc
	v_not_b32_e32 v14, v37
	v_and_b32_e32 v39, 0, v14
	v_add_u32_e32 v14, 20, v13
	v_lshrrev_b64 v[40:41], v13, v[54:55]
	v_not_b32_e32 v15, v36
	v_lshlrev_b64 v[50:51], v14, 1
	v_lshrrev_b32_e32 v14, 23, v40
	v_and_b32_e32 v38, v54, v15
	v_add3_u32 v54, v13, v12, v14
	v_bfe_u32 v12, v40, 21, 1
	v_add_u32_e32 v12, -1, v12
	v_cmp_eq_u64_e32 vcc, v[38:39], v[50:51]
	v_cndmask_b32_e32 v12, 0, v12, vcc
	v_add_u32_e32 v12, v12, v40
	v_and_b32_e32 v12, 0x1fffff, v12
	v_add_co_u32_e32 v40, vcc, v12, v40
	v_add_u32_e32 v37, 14, v54
	v_addc_co_u32_e32 v41, vcc, 0, v41, vcc
	v_cmp_ne_u32_e32 vcc, 0, v37
                                        ; implicit-def: $vgpr36
	s_and_saveexec_b64 s[18:19], vcc
	s_xor_b64 s[18:19], exec, s[18:19]
; %bb.450:                              ;   in Loop: Header=BB4_282 Depth=3
	v_add_u32_e32 v12, 15, v54
	v_cmp_lt_u64_e32 vcc, s[42:43], v[40:41]
	v_cndmask_b32_e32 v36, v37, v12, vcc
	v_cndmask_b32_e64 v12, 0, 1, vcc
	v_lshrrev_b64 v[40:41], v12, v[40:41]
; %bb.451:                              ;   in Loop: Header=BB4_282 Depth=3
	s_andn2_saveexec_b64 s[18:19], s[18:19]
; %bb.452:                              ;   in Loop: Header=BB4_282 Depth=3
	v_bfe_u32 v36, v40, 23, 1
; %bb.453:                              ;   in Loop: Header=BB4_282 Depth=3
	s_or_b64 exec, exec, s[18:19]
	v_lshrrev_b64 v[38:39], 21, v[40:41]
	v_cmp_gt_i32_e32 vcc, 32, v36
	v_min_i32_e32 v12, 31, v36
	v_cndmask_b32_e32 v39, 0, v39, vcc
	v_cndmask_b32_e32 v38, 3, v38, vcc
	v_lshlrev_b32_e32 v12, 2, v12
	v_cmp_eq_u32_e32 vcc, 0, v36
	v_cmp_eq_u64_e64 s[18:19], 0, v[38:39]
	v_and_b32_e32 v12, 0xfc, v12
	v_and_or_b32 v12, v38, 3, v12
	s_and_b64 s[18:19], vcc, s[18:19]
	v_cndmask_b32_e64 v12, v12, 0, s[18:19]
	v_or_b32_e32 v36, v12, v23
.LBB4_454:                              ;   in Loop: Header=BB4_282 Depth=3
	s_or_b64 exec, exec, s[52:53]
.LBB4_455:                              ;   in Loop: Header=BB4_282 Depth=3
	s_or_b64 exec, exec, s[50:51]
                                        ; implicit-def: $vgpr37
.LBB4_456:                              ;   in Loop: Header=BB4_282 Depth=3
	s_andn2_saveexec_b64 s[18:19], s[48:49]
; %bb.457:                              ;   in Loop: Header=BB4_282 Depth=3
	v_or_b32_sdwa v12, v37, s68 dst_sel:DWORD dst_unused:UNUSED_PAD src0_sel:BYTE_3 src1_sel:DWORD
	v_cmp_eq_u64_e32 vcc, 0, v[54:55]
	v_cndmask_b32_e32 v36, v12, v36, vcc
; %bb.458:                              ;   in Loop: Header=BB4_282 Depth=3
	s_or_b64 exec, exec, s[18:19]
	s_waitcnt vmcnt(0)
	v_cmp_ne_u16_sdwa vcc, v16, v55 src0_sel:BYTE_0 src1_sel:DWORD
	v_mov_b32_e32 v37, 0
	v_mov_b32_e32 v23, 0
	s_and_saveexec_b64 s[18:19], vcc
	s_cbranch_execz .LBB4_466
; %bb.459:                              ;   in Loop: Header=BB4_282 Depth=3
	v_cmp_ne_u16_sdwa vcc, sext(v16), s63 src0_sel:BYTE_0 src1_sel:DWORD
	v_bfrev_b32_e32 v23, 1
	s_and_saveexec_b64 s[48:49], vcc
	s_cbranch_execz .LBB4_465
; %bb.460:                              ;   in Loop: Header=BB4_282 Depth=3
	v_and_b32_e32 v12, 0x7c, v16
	v_and_b32_e32 v54, 3, v16
	v_cmp_ne_u32_e32 vcc, s64, v12
                                        ; implicit-def: $vgpr23
	s_and_saveexec_b64 s[50:51], vcc
	s_xor_b64 s[50:51], exec, s[50:51]
	s_cbranch_execz .LBB4_462
; %bb.461:                              ;   in Loop: Header=BB4_282 Depth=3
	v_ffbh_u32_e32 v13, v54
	v_min_u32_e32 v13, 32, v13
	v_bfe_u32 v12, v16, 2, 5
	v_subrev_u32_e32 v14, 29, v13
	v_lshlrev_b64 v[38:39], v14, v[16:17]
	v_sub_u32_e32 v13, 30, v13
	v_cmp_eq_u32_e32 vcc, 0, v12
	v_and_b32_e32 v14, 3, v38
	v_cndmask_b32_e32 v12, v12, v13, vcc
	v_cndmask_b32_e32 v13, v54, v14, vcc
	v_lshlrev_b32_e32 v14, 24, v16
	v_lshl_add_u32 v12, v12, 23, v7
	v_and_or_b32 v12, v14, s65, v12
	v_lshl_or_b32 v23, v13, 21, v12
                                        ; implicit-def: $vgpr54
.LBB4_462:                              ;   in Loop: Header=BB4_282 Depth=3
	s_andn2_saveexec_b64 s[50:51], s[50:51]
; %bb.463:                              ;   in Loop: Header=BB4_282 Depth=3
	v_cmp_gt_i16_sdwa vcc, sext(v16), v47 src0_sel:BYTE_0 src1_sel:DWORD
	v_cndmask_b32_e32 v12, v24, v25, vcc
	v_cmp_eq_u32_e32 vcc, 0, v54
	v_cndmask_b32_e32 v23, v6, v12, vcc
; %bb.464:                              ;   in Loop: Header=BB4_282 Depth=3
	s_or_b64 exec, exec, s[50:51]
.LBB4_465:                              ;   in Loop: Header=BB4_282 Depth=3
	s_or_b64 exec, exec, s[48:49]
.LBB4_466:                              ;   in Loop: Header=BB4_282 Depth=3
	s_or_b64 exec, exec, s[18:19]
	v_cmp_ne_u16_sdwa vcc, v10, v55 src0_sel:BYTE_0 src1_sel:DWORD
	s_and_saveexec_b64 s[18:19], vcc
	s_cbranch_execz .LBB4_474
; %bb.467:                              ;   in Loop: Header=BB4_282 Depth=3
	v_cmp_ne_u16_sdwa vcc, sext(v10), s63 src0_sel:BYTE_0 src1_sel:DWORD
	v_bfrev_b32_e32 v37, 1
	s_and_saveexec_b64 s[48:49], vcc
	s_cbranch_execz .LBB4_473
; %bb.468:                              ;   in Loop: Header=BB4_282 Depth=3
	v_and_b32_e32 v12, 0x7c, v10
	v_and_b32_e32 v17, 3, v10
	v_cmp_ne_u32_e32 vcc, s64, v12
                                        ; implicit-def: $vgpr37
	s_and_saveexec_b64 s[50:51], vcc
	s_xor_b64 s[50:51], exec, s[50:51]
	s_cbranch_execz .LBB4_470
; %bb.469:                              ;   in Loop: Header=BB4_282 Depth=3
	v_ffbh_u32_e32 v13, v17
	v_min_u32_e32 v13, 32, v13
	v_bfe_u32 v12, v10, 2, 5
	v_subrev_u32_e32 v14, 29, v13
	v_lshlrev_b64 v[38:39], v14, v[10:11]
	v_sub_u32_e32 v13, 30, v13
	v_cmp_eq_u32_e32 vcc, 0, v12
	v_and_b32_e32 v14, 3, v38
	v_cndmask_b32_e32 v12, v12, v13, vcc
	v_cndmask_b32_e32 v13, v17, v14, vcc
	v_lshlrev_b32_e32 v14, 24, v10
	v_lshl_add_u32 v12, v12, 23, v7
	v_and_or_b32 v12, v14, s65, v12
	v_lshl_or_b32 v37, v13, 21, v12
                                        ; implicit-def: $vgpr17
.LBB4_470:                              ;   in Loop: Header=BB4_282 Depth=3
	s_andn2_saveexec_b64 s[50:51], s[50:51]
; %bb.471:                              ;   in Loop: Header=BB4_282 Depth=3
	v_cmp_gt_i16_sdwa vcc, sext(v10), v47 src0_sel:BYTE_0 src1_sel:DWORD
	v_cndmask_b32_e32 v12, v24, v25, vcc
	v_cmp_eq_u32_e32 vcc, 0, v17
	v_cndmask_b32_e32 v37, v6, v12, vcc
; %bb.472:                              ;   in Loop: Header=BB4_282 Depth=3
	s_or_b64 exec, exec, s[50:51]
.LBB4_473:                              ;   in Loop: Header=BB4_282 Depth=3
	s_or_b64 exec, exec, s[48:49]
.LBB4_474:                              ;   in Loop: Header=BB4_282 Depth=3
	s_or_b64 exec, exec, s[18:19]
	v_add_f32_e32 v37, v23, v37
	v_and_b32_sdwa v23, v37, s66 dst_sel:DWORD dst_unused:UNUSED_PAD src0_sel:BYTE_3 src1_sel:DWORD
	v_and_b32_e32 v38, 0x7f800000, v37
	v_mov_b32_e32 v39, v55
	v_and_b32_e32 v54, 0x7fffff, v37
	v_or_b32_e32 v17, 0x7b, v23
	v_cmp_ne_u64_e32 vcc, s[38:39], v[38:39]
	s_and_saveexec_b64 s[18:19], vcc
	s_xor_b64 s[48:49], exec, s[18:19]
	s_cbranch_execz .LBB4_484
; %bb.475:                              ;   in Loop: Header=BB4_282 Depth=3
	v_and_b32_e32 v38, 0x7fffffff, v37
	v_mov_b32_e32 v39, v55
	v_cmp_gt_u64_e32 vcc, s[40:41], v[38:39]
	s_and_saveexec_b64 s[50:51], vcc
	s_cbranch_execz .LBB4_483
; %bb.476:                              ;   in Loop: Header=BB4_282 Depth=3
	v_cmp_ne_u32_e32 vcc, 0, v37
	v_mov_b32_e32 v17, 0
	s_and_saveexec_b64 s[52:53], vcc
	s_cbranch_execz .LBB4_482
; %bb.477:                              ;   in Loop: Header=BB4_282 Depth=3
	v_bfe_u32 v12, v37, 23, 8
	v_sub_u32_e32 v14, 0x71, v12
	v_cmp_gt_u32_e32 vcc, s67, v12
	v_add_u32_e32 v13, 0xffffff81, v12
	v_cndmask_b32_e32 v14, 0, v14, vcc
	v_cmp_eq_u32_e32 vcc, 0, v12
	v_cndmask_b32_e32 v12, v13, v48, vcc
	v_cndmask_b32_e32 v13, v14, v49, vcc
	v_add_u32_e32 v14, 21, v13
	v_or_b32_e32 v15, 0x800000, v54
	v_lshlrev_b64 v[38:39], v14, -1
	v_cndmask_b32_e32 v54, v15, v54, vcc
	v_not_b32_e32 v14, v39
	v_and_b32_e32 v39, 0, v14
	v_add_u32_e32 v14, 20, v13
	v_lshrrev_b64 v[40:41], v13, v[54:55]
	v_not_b32_e32 v15, v38
	v_lshlrev_b64 v[50:51], v14, 1
	v_lshrrev_b32_e32 v14, 23, v40
	v_and_b32_e32 v38, v54, v15
	v_add3_u32 v54, v13, v12, v14
	v_bfe_u32 v12, v40, 21, 1
	v_add_u32_e32 v12, -1, v12
	v_cmp_eq_u64_e32 vcc, v[38:39], v[50:51]
	v_cndmask_b32_e32 v12, 0, v12, vcc
	v_add_u32_e32 v12, v12, v40
	v_and_b32_e32 v12, 0x1fffff, v12
	v_add_co_u32_e32 v40, vcc, v12, v40
	v_add_u32_e32 v37, 14, v54
	v_addc_co_u32_e32 v41, vcc, 0, v41, vcc
	v_cmp_ne_u32_e32 vcc, 0, v37
                                        ; implicit-def: $vgpr17
	s_and_saveexec_b64 s[18:19], vcc
	s_xor_b64 s[18:19], exec, s[18:19]
; %bb.478:                              ;   in Loop: Header=BB4_282 Depth=3
	v_add_u32_e32 v12, 15, v54
	v_cmp_lt_u64_e32 vcc, s[42:43], v[40:41]
	v_cndmask_b32_e32 v17, v37, v12, vcc
	v_cndmask_b32_e64 v12, 0, 1, vcc
	v_lshrrev_b64 v[40:41], v12, v[40:41]
; %bb.479:                              ;   in Loop: Header=BB4_282 Depth=3
	s_andn2_saveexec_b64 s[18:19], s[18:19]
; %bb.480:                              ;   in Loop: Header=BB4_282 Depth=3
	v_bfe_u32 v17, v40, 23, 1
; %bb.481:                              ;   in Loop: Header=BB4_282 Depth=3
	s_or_b64 exec, exec, s[18:19]
	v_lshrrev_b64 v[38:39], 21, v[40:41]
	v_cmp_gt_i32_e32 vcc, 32, v17
	v_cndmask_b32_e32 v39, 0, v39, vcc
	v_cndmask_b32_e32 v38, 3, v38, vcc
	v_min_i32_e32 v12, 31, v17
	v_cmp_eq_u32_e32 vcc, 0, v17
	v_cmp_eq_u64_e64 s[18:19], 0, v[38:39]
	v_lshlrev_b32_e32 v12, 2, v12
	v_and_or_b32 v12, v38, 3, v12
	s_and_b64 s[18:19], vcc, s[18:19]
	v_cndmask_b32_e64 v12, v12, 0, s[18:19]
	v_or_b32_e32 v17, v12, v23
.LBB4_482:                              ;   in Loop: Header=BB4_282 Depth=3
	s_or_b64 exec, exec, s[52:53]
.LBB4_483:                              ;   in Loop: Header=BB4_282 Depth=3
	s_or_b64 exec, exec, s[50:51]
                                        ; implicit-def: $vgpr37
.LBB4_484:                              ;   in Loop: Header=BB4_282 Depth=3
	s_andn2_saveexec_b64 s[18:19], s[48:49]
; %bb.485:                              ;   in Loop: Header=BB4_282 Depth=3
	v_or_b32_sdwa v12, v37, s68 dst_sel:DWORD dst_unused:UNUSED_PAD src0_sel:BYTE_3 src1_sel:DWORD
	v_cmp_eq_u64_e32 vcc, 0, v[54:55]
	v_cndmask_b32_e32 v17, v12, v17, vcc
; %bb.486:                              ;   in Loop: Header=BB4_282 Depth=3
	s_or_b64 exec, exec, s[18:19]
	v_lshrrev_b16_e32 v54, 8, v16
	v_cmp_ne_u16_e32 vcc, 0, v54
	v_mov_b32_e32 v23, 0
	v_mov_b32_e32 v37, 0
	s_and_saveexec_b64 s[18:19], vcc
	s_cbranch_execz .LBB4_494
; %bb.487:                              ;   in Loop: Header=BB4_282 Depth=3
	v_cmp_ne_u16_e32 vcc, s66, v54
	v_bfrev_b32_e32 v37, 1
	s_and_saveexec_b64 s[48:49], vcc
	s_cbranch_execz .LBB4_493
; %bb.488:                              ;   in Loop: Header=BB4_282 Depth=3
	v_and_b32_e32 v12, 0x7c, v54
	v_and_b32_e32 v40, 3, v54
	v_cmp_ne_u32_e32 vcc, s64, v12
                                        ; implicit-def: $vgpr37
	s_and_saveexec_b64 s[50:51], vcc
	s_xor_b64 s[50:51], exec, s[50:51]
	s_cbranch_execz .LBB4_490
; %bb.489:                              ;   in Loop: Header=BB4_282 Depth=3
	v_ffbh_u32_e32 v13, v40
	v_min_u32_e32 v13, 32, v13
	v_bfe_u32 v12, v54, 2, 5
	v_subrev_u32_e32 v14, 29, v13
	v_lshlrev_b64 v[38:39], v14, v[54:55]
	v_sub_u32_e32 v13, 30, v13
	v_cmp_eq_u32_e32 vcc, 0, v12
	v_and_b32_e32 v14, 3, v38
	v_cndmask_b32_e32 v12, v12, v13, vcc
	v_cndmask_b32_e32 v13, v40, v14, vcc
	v_lshlrev_b32_e32 v14, 16, v16
	v_lshl_add_u32 v12, v12, 23, v7
	v_and_or_b32 v12, v14, s65, v12
	v_lshl_or_b32 v37, v13, 21, v12
                                        ; implicit-def: $vgpr40
.LBB4_490:                              ;   in Loop: Header=BB4_282 Depth=3
	s_andn2_saveexec_b64 s[50:51], s[50:51]
; %bb.491:                              ;   in Loop: Header=BB4_282 Depth=3
	v_cmp_lt_i16_e32 vcc, -1, v16
	v_cndmask_b32_e32 v12, v24, v25, vcc
	v_cmp_eq_u32_e32 vcc, 0, v40
	v_cndmask_b32_e32 v37, v6, v12, vcc
; %bb.492:                              ;   in Loop: Header=BB4_282 Depth=3
	s_or_b64 exec, exec, s[50:51]
.LBB4_493:                              ;   in Loop: Header=BB4_282 Depth=3
	s_or_b64 exec, exec, s[48:49]
.LBB4_494:                              ;   in Loop: Header=BB4_282 Depth=3
	s_or_b64 exec, exec, s[18:19]
	v_perm_b32 v10, v11, v10, s72
	v_lshrrev_b16_e32 v54, 8, v10
	v_cmp_ne_u16_e32 vcc, 0, v54
	s_and_saveexec_b64 s[18:19], vcc
	s_cbranch_execz .LBB4_502
; %bb.495:                              ;   in Loop: Header=BB4_282 Depth=3
	v_cmp_ne_u16_e32 vcc, s66, v54
	v_bfrev_b32_e32 v23, 1
	s_and_saveexec_b64 s[48:49], vcc
	s_cbranch_execz .LBB4_501
; %bb.496:                              ;   in Loop: Header=BB4_282 Depth=3
	v_and_b32_e32 v12, 0x7c, v54
	v_and_b32_e32 v11, 3, v54
	v_cmp_ne_u32_e32 vcc, s64, v12
                                        ; implicit-def: $vgpr23
	s_and_saveexec_b64 s[50:51], vcc
	s_xor_b64 s[50:51], exec, s[50:51]
	s_cbranch_execz .LBB4_498
; %bb.497:                              ;   in Loop: Header=BB4_282 Depth=3
	v_ffbh_u32_e32 v13, v11
	v_bfe_u32 v12, v54, 2, 5
	v_min_u32_e32 v13, 32, v13
	v_subrev_u32_e32 v14, 29, v13
	v_sub_u32_e32 v13, 30, v13
	v_cmp_eq_u32_e32 vcc, 0, v12
	v_lshlrev_b64 v[38:39], v14, v[54:55]
	v_cndmask_b32_e32 v12, v12, v13, vcc
	v_and_b32_e32 v14, 3, v38
	v_lshlrev_b32_e32 v10, 16, v10
	v_lshl_add_u32 v12, v12, 23, v7
	v_cndmask_b32_e32 v11, v11, v14, vcc
	v_and_or_b32 v10, v10, s65, v12
	v_lshl_or_b32 v23, v11, 21, v10
                                        ; implicit-def: $vgpr11
                                        ; implicit-def: $vgpr10
.LBB4_498:                              ;   in Loop: Header=BB4_282 Depth=3
	s_andn2_saveexec_b64 s[50:51], s[50:51]
; %bb.499:                              ;   in Loop: Header=BB4_282 Depth=3
	v_cmp_lt_i16_e32 vcc, -1, v10
	v_cndmask_b32_e32 v10, v24, v25, vcc
	v_cmp_eq_u32_e32 vcc, 0, v11
	v_cndmask_b32_e32 v23, v6, v10, vcc
; %bb.500:                              ;   in Loop: Header=BB4_282 Depth=3
	s_or_b64 exec, exec, s[50:51]
.LBB4_501:                              ;   in Loop: Header=BB4_282 Depth=3
	s_or_b64 exec, exec, s[48:49]
.LBB4_502:                              ;   in Loop: Header=BB4_282 Depth=3
	s_or_b64 exec, exec, s[18:19]
	v_add_f32_e32 v10, v37, v23
	v_and_b32_sdwa v23, v10, s66 dst_sel:DWORD dst_unused:UNUSED_PAD src0_sel:BYTE_3 src1_sel:DWORD
	v_and_b32_e32 v38, 0x7f800000, v10
	v_mov_b32_e32 v39, v55
	v_and_b32_e32 v54, 0x7fffff, v10
	v_or_b32_e32 v40, 0x7b, v23
	v_cmp_ne_u64_e32 vcc, s[38:39], v[38:39]
	s_and_saveexec_b64 s[18:19], vcc
	s_xor_b64 s[48:49], exec, s[18:19]
	s_cbranch_execz .LBB4_512
; %bb.503:                              ;   in Loop: Header=BB4_282 Depth=3
	v_and_b32_e32 v38, 0x7fffffff, v10
	v_mov_b32_e32 v39, v55
	v_cmp_gt_u64_e32 vcc, s[40:41], v[38:39]
	s_and_saveexec_b64 s[50:51], vcc
	s_cbranch_execz .LBB4_511
; %bb.504:                              ;   in Loop: Header=BB4_282 Depth=3
	v_cmp_ne_u32_e32 vcc, 0, v10
	v_mov_b32_e32 v40, 0
	s_and_saveexec_b64 s[52:53], vcc
	s_cbranch_execz .LBB4_510
; %bb.505:                              ;   in Loop: Header=BB4_282 Depth=3
	v_bfe_u32 v10, v10, 23, 8
	v_sub_u32_e32 v12, 0x71, v10
	v_cmp_gt_u32_e32 vcc, s67, v10
	v_cndmask_b32_e32 v12, 0, v12, vcc
	v_cmp_eq_u32_e32 vcc, 0, v10
	v_or_b32_e32 v13, 0x800000, v54
	v_cndmask_b32_e32 v12, v12, v49, vcc
	v_add_u32_e32 v11, 0xffffff81, v10
	v_cndmask_b32_e32 v54, v13, v54, vcc
	v_add_u32_e32 v10, 21, v12
	v_cndmask_b32_e32 v14, v11, v48, vcc
	v_lshlrev_b64 v[10:11], v10, -1
	v_add_u32_e32 v13, 20, v12
	v_lshrrev_b64 v[50:51], v12, v[54:55]
	v_not_b32_e32 v11, v11
	v_not_b32_e32 v10, v10
	v_lshlrev_b64 v[38:39], v13, 1
	v_lshrrev_b32_e32 v13, 23, v50
	v_and_b32_e32 v11, 0, v11
	v_and_b32_e32 v10, v54, v10
	v_add3_u32 v40, v12, v14, v13
	v_bfe_u32 v12, v50, 21, 1
	v_add_u32_e32 v12, -1, v12
	v_cmp_eq_u64_e32 vcc, v[10:11], v[38:39]
	v_cndmask_b32_e32 v10, 0, v12, vcc
	v_add_u32_e32 v10, v10, v50
	v_and_b32_e32 v10, 0x1fffff, v10
	v_add_co_u32_e32 v10, vcc, v10, v50
	v_add_u32_e32 v54, 14, v40
	v_addc_co_u32_e32 v11, vcc, 0, v51, vcc
	v_cmp_ne_u32_e32 vcc, 0, v54
                                        ; implicit-def: $vgpr37
	s_and_saveexec_b64 s[18:19], vcc
	s_xor_b64 s[18:19], exec, s[18:19]
; %bb.506:                              ;   in Loop: Header=BB4_282 Depth=3
	v_add_u32_e32 v12, 15, v40
	v_cmp_lt_u64_e32 vcc, s[42:43], v[10:11]
	v_cndmask_b32_e32 v37, v54, v12, vcc
	v_cndmask_b32_e64 v12, 0, 1, vcc
	v_lshrrev_b64 v[10:11], v12, v[10:11]
; %bb.507:                              ;   in Loop: Header=BB4_282 Depth=3
	s_andn2_saveexec_b64 s[18:19], s[18:19]
; %bb.508:                              ;   in Loop: Header=BB4_282 Depth=3
	v_bfe_u32 v37, v10, 23, 1
; %bb.509:                              ;   in Loop: Header=BB4_282 Depth=3
	s_or_b64 exec, exec, s[18:19]
	v_lshrrev_b64 v[10:11], 21, v[10:11]
	v_cmp_gt_i32_e32 vcc, 32, v37
	v_cndmask_b32_e32 v11, 0, v11, vcc
	v_cndmask_b32_e32 v10, 3, v10, vcc
	v_cmp_eq_u64_e64 s[18:19], 0, v[10:11]
	v_min_i32_e32 v11, 31, v37
	v_cmp_eq_u32_e32 vcc, 0, v37
	v_lshlrev_b32_e32 v11, 2, v11
	v_and_or_b32 v10, v10, 3, v11
	s_and_b64 s[18:19], vcc, s[18:19]
	v_cndmask_b32_e64 v10, v10, 0, s[18:19]
	v_or_b32_e32 v40, v10, v23
.LBB4_510:                              ;   in Loop: Header=BB4_282 Depth=3
	s_or_b64 exec, exec, s[52:53]
.LBB4_511:                              ;   in Loop: Header=BB4_282 Depth=3
	s_or_b64 exec, exec, s[50:51]
                                        ; implicit-def: $vgpr10
.LBB4_512:                              ;   in Loop: Header=BB4_282 Depth=3
	s_andn2_saveexec_b64 s[18:19], s[48:49]
; %bb.513:                              ;   in Loop: Header=BB4_282 Depth=3
	v_or_b32_sdwa v10, v10, s68 dst_sel:DWORD dst_unused:UNUSED_PAD src0_sel:BYTE_3 src1_sel:DWORD
	v_cmp_eq_u64_e32 vcc, 0, v[54:55]
	v_cndmask_b32_e32 v40, v10, v40, vcc
; %bb.514:                              ;   in Loop: Header=BB4_282 Depth=3
	s_or_b64 exec, exec, s[18:19]
	v_lshrrev_b32_e32 v10, 16, v16
	v_cmp_ne_u16_sdwa vcc, v10, v55 src0_sel:BYTE_0 src1_sel:DWORD
	v_mov_b32_e32 v11, 0
	v_mov_b32_e32 v23, 0
	s_and_saveexec_b64 s[18:19], vcc
	s_cbranch_execz .LBB4_522
; %bb.515:                              ;   in Loop: Header=BB4_282 Depth=3
	v_cmp_ne_u16_sdwa vcc, v10, s66 src0_sel:BYTE_0 src1_sel:DWORD
	v_bfrev_b32_e32 v23, 1
	s_and_saveexec_b64 s[48:49], vcc
	s_cbranch_execz .LBB4_521
; %bb.516:                              ;   in Loop: Header=BB4_282 Depth=3
	v_and_b32_e32 v12, 0x7c0000, v16
	v_bfe_u32 v37, v16, 16, 2
	v_cmp_ne_u32_e32 vcc, s69, v12
                                        ; implicit-def: $vgpr23
	s_and_saveexec_b64 s[50:51], vcc
	s_xor_b64 s[50:51], exec, s[50:51]
	s_cbranch_execz .LBB4_518
; %bb.517:                              ;   in Loop: Header=BB4_282 Depth=3
	v_ffbh_u32_e32 v13, v37
	v_min_u32_e32 v13, 32, v13
	v_bfe_u32 v12, v16, 18, 5
	v_subrev_u32_e32 v14, 29, v13
	v_lshlrev_b64 v[38:39], v14, v[10:11]
	v_sub_u32_e32 v10, 30, v13
	v_cmp_eq_u32_e32 vcc, 0, v12
	v_and_b32_e32 v13, 3, v38
	v_cndmask_b32_e32 v10, v12, v10, vcc
	v_cndmask_b32_e32 v12, v37, v13, vcc
	v_lshlrev_b32_e32 v13, 8, v16
	v_lshl_add_u32 v10, v10, 23, v7
	v_and_or_b32 v10, v13, s65, v10
	v_lshl_or_b32 v23, v12, 21, v10
                                        ; implicit-def: $vgpr37
                                        ; implicit-def: $vgpr10
.LBB4_518:                              ;   in Loop: Header=BB4_282 Depth=3
	s_andn2_saveexec_b64 s[50:51], s[50:51]
; %bb.519:                              ;   in Loop: Header=BB4_282 Depth=3
	v_cmp_gt_i16_sdwa vcc, sext(v10), v47 src0_sel:BYTE_0 src1_sel:DWORD
	v_cndmask_b32_e32 v10, v24, v25, vcc
	v_cmp_eq_u32_e32 vcc, 0, v37
	v_cndmask_b32_e32 v23, v6, v10, vcc
; %bb.520:                              ;   in Loop: Header=BB4_282 Depth=3
	s_or_b64 exec, exec, s[50:51]
.LBB4_521:                              ;   in Loop: Header=BB4_282 Depth=3
	s_or_b64 exec, exec, s[48:49]
.LBB4_522:                              ;   in Loop: Header=BB4_282 Depth=3
	s_or_b64 exec, exec, s[18:19]
	v_cmp_ne_u16_sdwa vcc, v2, v55 src0_sel:BYTE_0 src1_sel:DWORD
	s_and_saveexec_b64 s[18:19], vcc
	s_cbranch_execz .LBB4_530
; %bb.523:                              ;   in Loop: Header=BB4_282 Depth=3
	v_cmp_ne_u16_sdwa vcc, sext(v2), s63 src0_sel:BYTE_0 src1_sel:DWORD
	v_bfrev_b32_e32 v11, 1
	s_and_saveexec_b64 s[48:49], vcc
	s_cbranch_execz .LBB4_529
; %bb.524:                              ;   in Loop: Header=BB4_282 Depth=3
	v_and_b32_e32 v11, 0x7c, v2
	v_and_b32_e32 v10, 3, v2
	v_cmp_ne_u32_e32 vcc, s64, v11
                                        ; implicit-def: $vgpr11
	s_and_saveexec_b64 s[50:51], vcc
	s_xor_b64 s[50:51], exec, s[50:51]
	s_cbranch_execz .LBB4_526
; %bb.525:                              ;   in Loop: Header=BB4_282 Depth=3
	v_ffbh_u32_e32 v12, v10
	v_bfe_u32 v11, v2, 2, 5
	v_min_u32_e32 v12, 32, v12
	v_subrev_u32_e32 v13, 29, v12
	v_sub_u32_e32 v12, 30, v12
	v_cmp_eq_u32_e32 vcc, 0, v11
	v_lshlrev_b64 v[38:39], v13, v[2:3]
	v_cndmask_b32_e32 v11, v11, v12, vcc
	v_and_b32_e32 v13, 3, v38
	v_lshlrev_b32_e32 v12, 24, v2
	v_lshl_add_u32 v11, v11, 23, v7
	v_cndmask_b32_e32 v10, v10, v13, vcc
	v_and_or_b32 v11, v12, s65, v11
	v_lshl_or_b32 v11, v10, 21, v11
                                        ; implicit-def: $vgpr10
.LBB4_526:                              ;   in Loop: Header=BB4_282 Depth=3
	s_andn2_saveexec_b64 s[50:51], s[50:51]
; %bb.527:                              ;   in Loop: Header=BB4_282 Depth=3
	v_cmp_gt_i16_sdwa vcc, sext(v2), v47 src0_sel:BYTE_0 src1_sel:DWORD
	v_cndmask_b32_e32 v11, v24, v25, vcc
	v_cmp_eq_u32_e32 vcc, 0, v10
	v_cndmask_b32_e32 v11, v6, v11, vcc
; %bb.528:                              ;   in Loop: Header=BB4_282 Depth=3
	s_or_b64 exec, exec, s[50:51]
.LBB4_529:                              ;   in Loop: Header=BB4_282 Depth=3
	s_or_b64 exec, exec, s[48:49]
.LBB4_530:                              ;   in Loop: Header=BB4_282 Depth=3
	s_or_b64 exec, exec, s[18:19]
	v_add_f32_e32 v10, v23, v11
	v_and_b32_sdwa v37, v10, s66 dst_sel:DWORD dst_unused:UNUSED_PAD src0_sel:BYTE_3 src1_sel:DWORD
	v_and_b32_e32 v38, 0x7f800000, v10
	v_mov_b32_e32 v39, v55
	v_and_b32_e32 v54, 0x7fffff, v10
	v_or_b32_e32 v23, 0x7b, v37
	v_cmp_ne_u64_e32 vcc, s[38:39], v[38:39]
	s_and_saveexec_b64 s[18:19], vcc
	s_xor_b64 s[48:49], exec, s[18:19]
	s_cbranch_execz .LBB4_540
; %bb.531:                              ;   in Loop: Header=BB4_282 Depth=3
	v_and_b32_e32 v38, 0x7fffffff, v10
	v_mov_b32_e32 v39, v55
	v_cmp_gt_u64_e32 vcc, s[40:41], v[38:39]
	s_and_saveexec_b64 s[50:51], vcc
	s_cbranch_execz .LBB4_539
; %bb.532:                              ;   in Loop: Header=BB4_282 Depth=3
	v_cmp_ne_u32_e32 vcc, 0, v10
	v_mov_b32_e32 v23, 0
	s_and_saveexec_b64 s[52:53], vcc
	s_cbranch_execz .LBB4_538
; %bb.533:                              ;   in Loop: Header=BB4_282 Depth=3
	v_bfe_u32 v10, v10, 23, 8
	v_sub_u32_e32 v12, 0x71, v10
	v_cmp_gt_u32_e32 vcc, s67, v10
	v_cndmask_b32_e32 v12, 0, v12, vcc
	v_cmp_eq_u32_e32 vcc, 0, v10
	v_or_b32_e32 v13, 0x800000, v54
	v_cndmask_b32_e32 v12, v12, v49, vcc
	v_add_u32_e32 v11, 0xffffff81, v10
	v_cndmask_b32_e32 v54, v13, v54, vcc
	v_add_u32_e32 v10, 21, v12
	v_cndmask_b32_e32 v14, v11, v48, vcc
	v_lshlrev_b64 v[10:11], v10, -1
	v_add_u32_e32 v13, 20, v12
	v_lshrrev_b64 v[50:51], v12, v[54:55]
	v_not_b32_e32 v11, v11
	v_not_b32_e32 v10, v10
	v_lshlrev_b64 v[38:39], v13, 1
	v_lshrrev_b32_e32 v13, 23, v50
	v_and_b32_e32 v11, 0, v11
	v_and_b32_e32 v10, v54, v10
	v_add3_u32 v41, v12, v14, v13
	v_bfe_u32 v12, v50, 21, 1
	v_add_u32_e32 v12, -1, v12
	v_cmp_eq_u64_e32 vcc, v[10:11], v[38:39]
	v_cndmask_b32_e32 v10, 0, v12, vcc
	v_add_u32_e32 v10, v10, v50
	v_and_b32_e32 v10, 0x1fffff, v10
	v_add_co_u32_e32 v10, vcc, v10, v50
	v_add_u32_e32 v54, 14, v41
	v_addc_co_u32_e32 v11, vcc, 0, v51, vcc
	v_cmp_ne_u32_e32 vcc, 0, v54
                                        ; implicit-def: $vgpr23
	s_and_saveexec_b64 s[18:19], vcc
	s_xor_b64 s[18:19], exec, s[18:19]
; %bb.534:                              ;   in Loop: Header=BB4_282 Depth=3
	v_add_u32_e32 v12, 15, v41
	v_cmp_lt_u64_e32 vcc, s[42:43], v[10:11]
	v_cndmask_b32_e32 v23, v54, v12, vcc
	v_cndmask_b32_e64 v12, 0, 1, vcc
	v_lshrrev_b64 v[10:11], v12, v[10:11]
; %bb.535:                              ;   in Loop: Header=BB4_282 Depth=3
	s_andn2_saveexec_b64 s[18:19], s[18:19]
; %bb.536:                              ;   in Loop: Header=BB4_282 Depth=3
	v_bfe_u32 v23, v10, 23, 1
; %bb.537:                              ;   in Loop: Header=BB4_282 Depth=3
	s_or_b64 exec, exec, s[18:19]
	v_lshrrev_b64 v[10:11], 21, v[10:11]
	v_cmp_gt_i32_e32 vcc, 32, v23
	v_cndmask_b32_e32 v11, 0, v11, vcc
	v_cndmask_b32_e32 v10, 3, v10, vcc
	v_cmp_eq_u64_e64 s[18:19], 0, v[10:11]
	v_min_i32_e32 v11, 31, v23
	v_cmp_eq_u32_e32 vcc, 0, v23
	v_lshlrev_b32_e32 v11, 2, v11
	v_and_or_b32 v10, v10, 3, v11
	s_and_b64 s[18:19], vcc, s[18:19]
	v_cndmask_b32_e64 v10, v10, 0, s[18:19]
	v_or_b32_e32 v23, v10, v37
.LBB4_538:                              ;   in Loop: Header=BB4_282 Depth=3
	s_or_b64 exec, exec, s[52:53]
.LBB4_539:                              ;   in Loop: Header=BB4_282 Depth=3
	s_or_b64 exec, exec, s[50:51]
                                        ; implicit-def: $vgpr10
.LBB4_540:                              ;   in Loop: Header=BB4_282 Depth=3
	s_andn2_saveexec_b64 s[18:19], s[48:49]
; %bb.541:                              ;   in Loop: Header=BB4_282 Depth=3
	v_or_b32_sdwa v10, v10, s68 dst_sel:DWORD dst_unused:UNUSED_PAD src0_sel:BYTE_3 src1_sel:DWORD
	v_cmp_eq_u64_e32 vcc, 0, v[54:55]
	v_cndmask_b32_e32 v23, v10, v23, vcc
; %bb.542:                              ;   in Loop: Header=BB4_282 Depth=3
	s_or_b64 exec, exec, s[18:19]
	v_cmp_lt_u32_e32 vcc, s37, v16
	v_mov_b32_e32 v37, 0
	v_mov_b32_e32 v11, 0
	s_and_saveexec_b64 s[18:19], vcc
	s_cbranch_execz .LBB4_550
; %bb.543:                              ;   in Loop: Header=BB4_282 Depth=3
	v_lshrrev_b32_e32 v10, 24, v16
	v_cmp_ne_u32_e32 vcc, s66, v10
	v_bfrev_b32_e32 v11, 1
	s_and_saveexec_b64 s[48:49], vcc
	s_cbranch_execz .LBB4_549
; %bb.544:                              ;   in Loop: Header=BB4_282 Depth=3
	v_and_b32_e32 v11, 0x7c000000, v16
	v_bfe_u32 v54, v16, 24, 2
	v_cmp_ne_u32_e32 vcc, s70, v11
                                        ; implicit-def: $vgpr11
	s_and_saveexec_b64 s[50:51], vcc
	s_xor_b64 s[50:51], exec, s[50:51]
	s_cbranch_execz .LBB4_546
; %bb.545:                              ;   in Loop: Header=BB4_282 Depth=3
	v_ffbh_u32_e32 v11, v54
	v_min_u32_e32 v13, 32, v11
	v_subrev_u32_e32 v11, 29, v13
	v_bfe_u32 v12, v16, 26, 5
	v_lshlrev_b64 v[10:11], v11, v[10:11]
	v_sub_u32_e32 v11, 30, v13
	v_cmp_eq_u32_e32 vcc, 0, v12
	v_cndmask_b32_e32 v11, v12, v11, vcc
	v_and_b32_e32 v10, 3, v10
	v_lshl_add_u32 v11, v11, 23, v7
	v_cndmask_b32_e32 v10, v54, v10, vcc
	v_and_or_b32 v11, v16, s65, v11
	v_lshl_or_b32 v11, v10, 21, v11
                                        ; implicit-def: $vgpr54
.LBB4_546:                              ;   in Loop: Header=BB4_282 Depth=3
	s_andn2_saveexec_b64 s[50:51], s[50:51]
; %bb.547:                              ;   in Loop: Header=BB4_282 Depth=3
	v_cmp_lt_i32_e32 vcc, -1, v16
	v_cndmask_b32_e32 v10, v24, v25, vcc
	v_cmp_eq_u32_e32 vcc, 0, v54
	v_cndmask_b32_e32 v11, v6, v10, vcc
; %bb.548:                              ;   in Loop: Header=BB4_282 Depth=3
	s_or_b64 exec, exec, s[50:51]
.LBB4_549:                              ;   in Loop: Header=BB4_282 Depth=3
	s_or_b64 exec, exec, s[48:49]
.LBB4_550:                              ;   in Loop: Header=BB4_282 Depth=3
	s_or_b64 exec, exec, s[18:19]
	v_lshlrev_b32_e32 v16, 8, v27
	v_and_b32_e32 v54, 0xff00, v16
	v_cmp_ne_u32_e32 vcc, 0, v54
	s_and_saveexec_b64 s[18:19], vcc
	s_cbranch_execz .LBB4_558
; %bb.551:                              ;   in Loop: Header=BB4_282 Depth=3
	v_cmp_ne_u32_e32 vcc, s74, v54
	v_bfrev_b32_e32 v37, 1
	s_and_saveexec_b64 s[48:49], vcc
	s_cbranch_execz .LBB4_557
; %bb.552:                              ;   in Loop: Header=BB4_282 Depth=3
	v_and_or_b32 v2, v2, s62, v54
	v_and_b32_e32 v12, 0x7c, v27
	v_bfe_u32 v10, v54, 8, 2
	v_lshlrev_b32_e32 v2, 16, v2
	v_cmp_ne_u32_e32 vcc, s64, v12
                                        ; implicit-def: $vgpr37
	s_and_saveexec_b64 s[50:51], vcc
	s_xor_b64 s[50:51], exec, s[50:51]
	s_cbranch_execz .LBB4_554
; %bb.553:                              ;   in Loop: Header=BB4_282 Depth=3
	v_ffbh_u32_e32 v13, v10
	v_bfe_u32 v12, v16, 10, 5
	v_min_u32_e32 v13, 32, v13
	v_lshrrev_b32_e32 v38, 8, v54
	v_subrev_u32_e32 v14, 29, v13
	v_sub_u32_e32 v13, 30, v13
	v_cmp_eq_u32_e32 vcc, 0, v12
	v_lshlrev_b64 v[38:39], v14, v[38:39]
	v_cndmask_b32_e32 v12, v12, v13, vcc
	v_and_b32_e32 v14, 3, v38
	v_lshl_add_u32 v12, v12, 23, v7
	v_cndmask_b32_e32 v10, v10, v14, vcc
	v_and_or_b32 v2, v2, s65, v12
	v_lshl_or_b32 v37, v10, 21, v2
                                        ; implicit-def: $vgpr10
                                        ; implicit-def: $vgpr2
.LBB4_554:                              ;   in Loop: Header=BB4_282 Depth=3
	s_andn2_saveexec_b64 s[50:51], s[50:51]
; %bb.555:                              ;   in Loop: Header=BB4_282 Depth=3
	v_cmp_lt_i32_e32 vcc, -1, v2
	v_cndmask_b32_e32 v2, v24, v25, vcc
	v_cmp_eq_u32_e32 vcc, 0, v10
	v_cndmask_b32_e32 v37, v6, v2, vcc
; %bb.556:                              ;   in Loop: Header=BB4_282 Depth=3
	s_or_b64 exec, exec, s[50:51]
.LBB4_557:                              ;   in Loop: Header=BB4_282 Depth=3
	s_or_b64 exec, exec, s[48:49]
.LBB4_558:                              ;   in Loop: Header=BB4_282 Depth=3
	s_or_b64 exec, exec, s[18:19]
	v_add_f32_e32 v10, v11, v37
	v_and_b32_sdwa v2, v10, s66 dst_sel:DWORD dst_unused:UNUSED_PAD src0_sel:BYTE_3 src1_sel:DWORD
	v_and_b32_e32 v38, 0x7f800000, v10
	v_mov_b32_e32 v39, v55
	v_and_b32_e32 v54, 0x7fffff, v10
	v_or_b32_e32 v16, 0x7b, v2
	v_cmp_ne_u64_e32 vcc, s[38:39], v[38:39]
	s_and_saveexec_b64 s[18:19], vcc
	s_xor_b64 s[48:49], exec, s[18:19]
	s_cbranch_execz .LBB4_568
; %bb.559:                              ;   in Loop: Header=BB4_282 Depth=3
	v_and_b32_e32 v38, 0x7fffffff, v10
	v_mov_b32_e32 v39, v55
	v_cmp_gt_u64_e32 vcc, s[40:41], v[38:39]
	s_and_saveexec_b64 s[50:51], vcc
	s_cbranch_execz .LBB4_567
; %bb.560:                              ;   in Loop: Header=BB4_282 Depth=3
	v_cmp_ne_u32_e32 vcc, 0, v10
	v_mov_b32_e32 v16, 0
	s_and_saveexec_b64 s[52:53], vcc
	s_cbranch_execz .LBB4_566
; %bb.561:                              ;   in Loop: Header=BB4_282 Depth=3
	v_bfe_u32 v10, v10, 23, 8
	v_sub_u32_e32 v12, 0x71, v10
	v_cmp_gt_u32_e32 vcc, s67, v10
	v_cndmask_b32_e32 v12, 0, v12, vcc
	v_cmp_eq_u32_e32 vcc, 0, v10
	v_or_b32_e32 v13, 0x800000, v54
	v_cndmask_b32_e32 v12, v12, v49, vcc
	v_add_u32_e32 v11, 0xffffff81, v10
	v_cndmask_b32_e32 v54, v13, v54, vcc
	v_add_u32_e32 v10, 21, v12
	v_cndmask_b32_e32 v14, v11, v48, vcc
	v_lshlrev_b64 v[10:11], v10, -1
	v_add_u32_e32 v13, 20, v12
	v_lshrrev_b64 v[50:51], v12, v[54:55]
	v_not_b32_e32 v11, v11
	v_not_b32_e32 v10, v10
	v_lshlrev_b64 v[38:39], v13, 1
	v_lshrrev_b32_e32 v13, 23, v50
	v_and_b32_e32 v11, 0, v11
	v_and_b32_e32 v10, v54, v10
	v_add3_u32 v37, v12, v14, v13
	v_bfe_u32 v12, v50, 21, 1
	v_add_u32_e32 v12, -1, v12
	v_cmp_eq_u64_e32 vcc, v[10:11], v[38:39]
	v_cndmask_b32_e32 v10, 0, v12, vcc
	v_add_u32_e32 v10, v10, v50
	v_and_b32_e32 v10, 0x1fffff, v10
	v_add_co_u32_e32 v10, vcc, v10, v50
	v_add_u32_e32 v27, 14, v37
	v_addc_co_u32_e32 v11, vcc, 0, v51, vcc
	v_cmp_ne_u32_e32 vcc, 0, v27
                                        ; implicit-def: $vgpr16
	s_and_saveexec_b64 s[18:19], vcc
	s_xor_b64 s[18:19], exec, s[18:19]
; %bb.562:                              ;   in Loop: Header=BB4_282 Depth=3
	v_add_u32_e32 v12, 15, v37
	v_cmp_lt_u64_e32 vcc, s[42:43], v[10:11]
	v_cndmask_b32_e32 v16, v27, v12, vcc
	v_cndmask_b32_e64 v12, 0, 1, vcc
	v_lshrrev_b64 v[10:11], v12, v[10:11]
; %bb.563:                              ;   in Loop: Header=BB4_282 Depth=3
	s_andn2_saveexec_b64 s[18:19], s[18:19]
; %bb.564:                              ;   in Loop: Header=BB4_282 Depth=3
	v_bfe_u32 v16, v10, 23, 1
; %bb.565:                              ;   in Loop: Header=BB4_282 Depth=3
	s_or_b64 exec, exec, s[18:19]
	v_lshrrev_b64 v[10:11], 21, v[10:11]
	v_cmp_gt_i32_e32 vcc, 32, v16
	v_cndmask_b32_e32 v11, 0, v11, vcc
	v_cndmask_b32_e32 v10, 3, v10, vcc
	v_cmp_eq_u64_e64 s[18:19], 0, v[10:11]
	v_min_i32_e32 v11, 31, v16
	v_cmp_eq_u32_e32 vcc, 0, v16
	v_lshlrev_b32_e32 v11, 2, v11
	v_and_or_b32 v10, v10, 3, v11
	s_and_b64 s[18:19], vcc, s[18:19]
	v_cndmask_b32_e64 v10, v10, 0, s[18:19]
	v_or_b32_e32 v16, v10, v2
.LBB4_566:                              ;   in Loop: Header=BB4_282 Depth=3
	s_or_b64 exec, exec, s[52:53]
.LBB4_567:                              ;   in Loop: Header=BB4_282 Depth=3
	s_or_b64 exec, exec, s[50:51]
                                        ; implicit-def: $vgpr10
.LBB4_568:                              ;   in Loop: Header=BB4_282 Depth=3
	s_andn2_saveexec_b64 s[18:19], s[48:49]
; %bb.569:                              ;   in Loop: Header=BB4_282 Depth=3
	v_or_b32_sdwa v2, v10, s68 dst_sel:DWORD dst_unused:UNUSED_PAD src0_sel:BYTE_3 src1_sel:DWORD
	v_cmp_eq_u64_e32 vcc, 0, v[54:55]
	v_cndmask_b32_e32 v16, v2, v16, vcc
; %bb.570:                              ;   in Loop: Header=BB4_282 Depth=3
	s_or_b64 exec, exec, s[18:19]
	v_cmp_ne_u16_sdwa vcc, v18, v55 src0_sel:BYTE_0 src1_sel:DWORD
	v_mov_b32_e32 v11, 0
	v_mov_b32_e32 v10, 0
	s_and_saveexec_b64 s[18:19], vcc
	s_cbranch_execz .LBB4_578
; %bb.571:                              ;   in Loop: Header=BB4_282 Depth=3
	v_cmp_ne_u16_sdwa vcc, sext(v18), s63 src0_sel:BYTE_0 src1_sel:DWORD
	v_bfrev_b32_e32 v10, 1
	s_and_saveexec_b64 s[48:49], vcc
	s_cbranch_execz .LBB4_577
; %bb.572:                              ;   in Loop: Header=BB4_282 Depth=3
	v_and_b32_e32 v10, 0x7c, v18
	v_and_b32_e32 v2, 3, v18
	v_cmp_ne_u32_e32 vcc, s64, v10
                                        ; implicit-def: $vgpr10
	s_and_saveexec_b64 s[50:51], vcc
	s_xor_b64 s[50:51], exec, s[50:51]
	s_cbranch_execz .LBB4_574
; %bb.573:                              ;   in Loop: Header=BB4_282 Depth=3
	v_ffbh_u32_e32 v12, v2
	v_bfe_u32 v10, v18, 2, 5
	v_min_u32_e32 v12, 32, v12
	v_subrev_u32_e32 v13, 29, v12
	v_sub_u32_e32 v12, 30, v12
	v_cmp_eq_u32_e32 vcc, 0, v10
	v_lshlrev_b64 v[38:39], v13, v[18:19]
	v_cndmask_b32_e32 v10, v10, v12, vcc
	v_and_b32_e32 v13, 3, v38
	v_lshlrev_b32_e32 v12, 24, v18
	v_lshl_add_u32 v10, v10, 23, v7
	v_cndmask_b32_e32 v2, v2, v13, vcc
	v_and_or_b32 v10, v12, s65, v10
	v_lshl_or_b32 v10, v2, 21, v10
                                        ; implicit-def: $vgpr2
.LBB4_574:                              ;   in Loop: Header=BB4_282 Depth=3
	s_andn2_saveexec_b64 s[50:51], s[50:51]
; %bb.575:                              ;   in Loop: Header=BB4_282 Depth=3
	v_cmp_gt_i16_sdwa vcc, sext(v18), v47 src0_sel:BYTE_0 src1_sel:DWORD
	v_cndmask_b32_e32 v10, v24, v25, vcc
	v_cmp_eq_u32_e32 vcc, 0, v2
	v_cndmask_b32_e32 v10, v6, v10, vcc
; %bb.576:                              ;   in Loop: Header=BB4_282 Depth=3
	s_or_b64 exec, exec, s[50:51]
.LBB4_577:                              ;   in Loop: Header=BB4_282 Depth=3
	s_or_b64 exec, exec, s[48:49]
.LBB4_578:                              ;   in Loop: Header=BB4_282 Depth=3
	s_or_b64 exec, exec, s[18:19]
	v_lshlrev_b32_e32 v2, 8, v22
	v_lshlrev_b32_e32 v22, 24, v36
	v_perm_b32 v2, v2, v26, s71
	v_lshl_or_b32 v27, v1, 16, v22
	v_cmp_ne_u16_sdwa vcc, v26, v55 src0_sel:BYTE_0 src1_sel:DWORD
	s_and_saveexec_b64 s[18:19], vcc
	s_cbranch_execz .LBB4_586
; %bb.579:                              ;   in Loop: Header=BB4_282 Depth=3
	v_cmp_ne_u16_sdwa vcc, sext(v26), s63 src0_sel:BYTE_0 src1_sel:DWORD
	v_bfrev_b32_e32 v11, 1
	s_and_saveexec_b64 s[48:49], vcc
	s_cbranch_execz .LBB4_585
; %bb.580:                              ;   in Loop: Header=BB4_282 Depth=3
	v_and_b32_e32 v11, 0x7c, v26
	v_and_b32_e32 v19, 3, v26
	v_cmp_ne_u32_e32 vcc, s64, v11
                                        ; implicit-def: $vgpr11
	s_and_saveexec_b64 s[50:51], vcc
	s_xor_b64 s[50:51], exec, s[50:51]
	s_cbranch_execz .LBB4_582
; %bb.581:                              ;   in Loop: Header=BB4_282 Depth=3
	v_ffbh_u32_e32 v12, v19
	v_min_u32_e32 v12, 32, v12
	v_bfe_u32 v11, v26, 2, 5
	v_or_b32_e32 v36, v27, v2
	v_subrev_u32_e32 v13, 29, v12
	v_lshlrev_b64 v[36:37], v13, v[36:37]
	v_sub_u32_e32 v12, 30, v12
	v_cmp_eq_u32_e32 vcc, 0, v11
	v_and_b32_e32 v13, 3, v36
	v_cndmask_b32_e32 v11, v11, v12, vcc
	v_cndmask_b32_e32 v12, v19, v13, vcc
	v_lshlrev_b32_e32 v13, 24, v26
	v_lshl_add_u32 v11, v11, 23, v7
	v_and_or_b32 v11, v13, s65, v11
	v_lshl_or_b32 v11, v12, 21, v11
                                        ; implicit-def: $vgpr19
                                        ; implicit-def: $vgpr26
.LBB4_582:                              ;   in Loop: Header=BB4_282 Depth=3
	s_andn2_saveexec_b64 s[50:51], s[50:51]
; %bb.583:                              ;   in Loop: Header=BB4_282 Depth=3
	v_cmp_gt_i16_sdwa vcc, sext(v26), v47 src0_sel:BYTE_0 src1_sel:DWORD
	v_cndmask_b32_e32 v11, v24, v25, vcc
	v_cmp_eq_u32_e32 vcc, 0, v19
	v_cndmask_b32_e32 v11, v6, v11, vcc
; %bb.584:                              ;   in Loop: Header=BB4_282 Depth=3
	s_or_b64 exec, exec, s[50:51]
.LBB4_585:                              ;   in Loop: Header=BB4_282 Depth=3
	s_or_b64 exec, exec, s[48:49]
.LBB4_586:                              ;   in Loop: Header=BB4_282 Depth=3
	s_or_b64 exec, exec, s[18:19]
	v_add_f32_e32 v10, v10, v11
	v_and_b32_sdwa v26, v10, s66 dst_sel:DWORD dst_unused:UNUSED_PAD src0_sel:BYTE_3 src1_sel:DWORD
	v_and_b32_e32 v36, 0x7f800000, v10
	v_mov_b32_e32 v37, v55
	v_and_b32_e32 v54, 0x7fffff, v10
	v_or_b32_e32 v19, 0x7b, v26
	v_cmp_ne_u64_e32 vcc, s[38:39], v[36:37]
	s_and_saveexec_b64 s[18:19], vcc
	s_xor_b64 s[48:49], exec, s[18:19]
	s_cbranch_execz .LBB4_596
; %bb.587:                              ;   in Loop: Header=BB4_282 Depth=3
	v_and_b32_e32 v36, 0x7fffffff, v10
	v_mov_b32_e32 v37, v55
	v_cmp_gt_u64_e32 vcc, s[40:41], v[36:37]
	s_and_saveexec_b64 s[50:51], vcc
	s_cbranch_execz .LBB4_595
; %bb.588:                              ;   in Loop: Header=BB4_282 Depth=3
	v_cmp_ne_u32_e32 vcc, 0, v10
	v_mov_b32_e32 v19, 0
	s_and_saveexec_b64 s[52:53], vcc
	s_cbranch_execz .LBB4_594
; %bb.589:                              ;   in Loop: Header=BB4_282 Depth=3
	v_bfe_u32 v10, v10, 23, 8
	v_sub_u32_e32 v12, 0x71, v10
	v_cmp_gt_u32_e32 vcc, s67, v10
	v_cndmask_b32_e32 v12, 0, v12, vcc
	v_cmp_eq_u32_e32 vcc, 0, v10
	v_or_b32_e32 v13, 0x800000, v54
	v_cndmask_b32_e32 v12, v12, v49, vcc
	v_add_u32_e32 v11, 0xffffff81, v10
	v_cndmask_b32_e32 v54, v13, v54, vcc
	v_add_u32_e32 v10, 21, v12
	v_cndmask_b32_e32 v14, v11, v48, vcc
	v_lshlrev_b64 v[10:11], v10, -1
	v_add_u32_e32 v13, 20, v12
	v_lshrrev_b64 v[50:51], v12, v[54:55]
	v_not_b32_e32 v11, v11
	v_not_b32_e32 v10, v10
	v_lshlrev_b64 v[38:39], v13, 1
	v_lshrrev_b32_e32 v13, 23, v50
	v_and_b32_e32 v11, 0, v11
	v_and_b32_e32 v10, v54, v10
	v_add3_u32 v37, v12, v14, v13
	v_bfe_u32 v12, v50, 21, 1
	v_add_u32_e32 v12, -1, v12
	v_cmp_eq_u64_e32 vcc, v[10:11], v[38:39]
	v_cndmask_b32_e32 v10, 0, v12, vcc
	v_add_u32_e32 v10, v10, v50
	v_and_b32_e32 v10, 0x1fffff, v10
	v_add_co_u32_e32 v10, vcc, v10, v50
	v_add_u32_e32 v36, 14, v37
	v_addc_co_u32_e32 v11, vcc, 0, v51, vcc
	v_cmp_ne_u32_e32 vcc, 0, v36
                                        ; implicit-def: $vgpr19
	s_and_saveexec_b64 s[18:19], vcc
	s_xor_b64 s[18:19], exec, s[18:19]
; %bb.590:                              ;   in Loop: Header=BB4_282 Depth=3
	v_add_u32_e32 v12, 15, v37
	v_cmp_lt_u64_e32 vcc, s[42:43], v[10:11]
	v_cndmask_b32_e32 v19, v36, v12, vcc
	v_cndmask_b32_e64 v12, 0, 1, vcc
	v_lshrrev_b64 v[10:11], v12, v[10:11]
; %bb.591:                              ;   in Loop: Header=BB4_282 Depth=3
	s_andn2_saveexec_b64 s[18:19], s[18:19]
; %bb.592:                              ;   in Loop: Header=BB4_282 Depth=3
	v_bfe_u32 v19, v10, 23, 1
; %bb.593:                              ;   in Loop: Header=BB4_282 Depth=3
	s_or_b64 exec, exec, s[18:19]
	v_lshrrev_b64 v[10:11], 21, v[10:11]
	v_cmp_gt_i32_e32 vcc, 32, v19
	v_cndmask_b32_e32 v11, 0, v11, vcc
	v_cndmask_b32_e32 v10, 3, v10, vcc
	v_cmp_eq_u64_e64 s[18:19], 0, v[10:11]
	v_min_i32_e32 v11, 31, v19
	v_cmp_eq_u32_e32 vcc, 0, v19
	v_lshlrev_b32_e32 v11, 2, v11
	v_and_or_b32 v10, v10, 3, v11
	s_and_b64 s[18:19], vcc, s[18:19]
	v_cndmask_b32_e64 v10, v10, 0, s[18:19]
	v_or_b32_e32 v19, v10, v26
.LBB4_594:                              ;   in Loop: Header=BB4_282 Depth=3
	s_or_b64 exec, exec, s[52:53]
.LBB4_595:                              ;   in Loop: Header=BB4_282 Depth=3
	s_or_b64 exec, exec, s[50:51]
                                        ; implicit-def: $vgpr10
.LBB4_596:                              ;   in Loop: Header=BB4_282 Depth=3
	s_andn2_saveexec_b64 s[18:19], s[48:49]
; %bb.597:                              ;   in Loop: Header=BB4_282 Depth=3
	v_or_b32_sdwa v10, v10, s68 dst_sel:DWORD dst_unused:UNUSED_PAD src0_sel:BYTE_3 src1_sel:DWORD
	v_cmp_eq_u64_e32 vcc, 0, v[54:55]
	v_cndmask_b32_e32 v19, v10, v19, vcc
; %bb.598:                              ;   in Loop: Header=BB4_282 Depth=3
	s_or_b64 exec, exec, s[18:19]
	v_lshrrev_b16_e32 v54, 8, v18
	v_cmp_ne_u16_e32 vcc, 0, v54
	v_mov_b32_e32 v10, 0
	v_mov_b32_e32 v11, 0
	s_and_saveexec_b64 s[18:19], vcc
	s_cbranch_execz .LBB4_606
; %bb.599:                              ;   in Loop: Header=BB4_282 Depth=3
	v_cmp_ne_u16_e32 vcc, s66, v54
	v_bfrev_b32_e32 v11, 1
	s_and_saveexec_b64 s[48:49], vcc
	s_cbranch_execz .LBB4_605
; %bb.600:                              ;   in Loop: Header=BB4_282 Depth=3
	v_and_b32_e32 v11, 0x7c, v54
	v_and_b32_e32 v26, 3, v54
	v_cmp_ne_u32_e32 vcc, s64, v11
                                        ; implicit-def: $vgpr11
	s_and_saveexec_b64 s[50:51], vcc
	s_xor_b64 s[50:51], exec, s[50:51]
	s_cbranch_execz .LBB4_602
; %bb.601:                              ;   in Loop: Header=BB4_282 Depth=3
	v_ffbh_u32_e32 v12, v26
	v_min_u32_e32 v12, 32, v12
	v_bfe_u32 v11, v54, 2, 5
	v_subrev_u32_e32 v13, 29, v12
	v_lshlrev_b64 v[36:37], v13, v[54:55]
	v_sub_u32_e32 v12, 30, v12
	v_cmp_eq_u32_e32 vcc, 0, v11
	v_and_b32_e32 v13, 3, v36
	v_cndmask_b32_e32 v11, v11, v12, vcc
	v_cndmask_b32_e32 v12, v26, v13, vcc
	v_lshlrev_b32_e32 v13, 16, v18
	v_lshl_add_u32 v11, v11, 23, v7
	v_and_or_b32 v11, v13, s65, v11
	v_lshl_or_b32 v11, v12, 21, v11
                                        ; implicit-def: $vgpr26
.LBB4_602:                              ;   in Loop: Header=BB4_282 Depth=3
	s_andn2_saveexec_b64 s[50:51], s[50:51]
; %bb.603:                              ;   in Loop: Header=BB4_282 Depth=3
	v_cmp_lt_i16_e32 vcc, -1, v18
	v_cndmask_b32_e32 v11, v24, v25, vcc
	v_cmp_eq_u32_e32 vcc, 0, v26
	v_cndmask_b32_e32 v11, v6, v11, vcc
; %bb.604:                              ;   in Loop: Header=BB4_282 Depth=3
	s_or_b64 exec, exec, s[50:51]
.LBB4_605:                              ;   in Loop: Header=BB4_282 Depth=3
	s_or_b64 exec, exec, s[48:49]
.LBB4_606:                              ;   in Loop: Header=BB4_282 Depth=3
	s_or_b64 exec, exec, s[18:19]
	v_lshrrev_b16_e32 v54, 8, v2
	v_cmp_ne_u16_e32 vcc, 0, v54
	s_and_saveexec_b64 s[18:19], vcc
	s_cbranch_execz .LBB4_614
; %bb.607:                              ;   in Loop: Header=BB4_282 Depth=3
	v_cmp_ne_u16_e32 vcc, s66, v54
	v_bfrev_b32_e32 v10, 1
	s_and_saveexec_b64 s[48:49], vcc
	s_cbranch_execz .LBB4_613
; %bb.608:                              ;   in Loop: Header=BB4_282 Depth=3
	v_and_b32_e32 v10, 0x7c, v54
	v_and_b32_e32 v26, 3, v54
	v_cmp_ne_u32_e32 vcc, s64, v10
                                        ; implicit-def: $vgpr10
	s_and_saveexec_b64 s[50:51], vcc
	s_xor_b64 s[50:51], exec, s[50:51]
	s_cbranch_execz .LBB4_610
; %bb.609:                              ;   in Loop: Header=BB4_282 Depth=3
	v_ffbh_u32_e32 v12, v26
	v_bfe_u32 v10, v54, 2, 5
	v_min_u32_e32 v12, 32, v12
	v_subrev_u32_e32 v13, 29, v12
	v_sub_u32_e32 v12, 30, v12
	v_cmp_eq_u32_e32 vcc, 0, v10
	v_lshlrev_b64 v[36:37], v13, v[54:55]
	v_cndmask_b32_e32 v10, v10, v12, vcc
	v_and_b32_e32 v13, 3, v36
	v_lshlrev_b32_e32 v2, 16, v2
	v_lshl_add_u32 v10, v10, 23, v7
	v_cndmask_b32_e32 v12, v26, v13, vcc
	v_and_or_b32 v2, v2, s65, v10
	v_lshl_or_b32 v10, v12, 21, v2
                                        ; implicit-def: $vgpr26
                                        ; implicit-def: $vgpr2
.LBB4_610:                              ;   in Loop: Header=BB4_282 Depth=3
	s_andn2_saveexec_b64 s[50:51], s[50:51]
; %bb.611:                              ;   in Loop: Header=BB4_282 Depth=3
	v_cmp_lt_i16_e32 vcc, -1, v2
	v_cndmask_b32_e32 v2, v24, v25, vcc
	v_cmp_eq_u32_e32 vcc, 0, v26
	v_cndmask_b32_e32 v10, v6, v2, vcc
; %bb.612:                              ;   in Loop: Header=BB4_282 Depth=3
	s_or_b64 exec, exec, s[50:51]
.LBB4_613:                              ;   in Loop: Header=BB4_282 Depth=3
	s_or_b64 exec, exec, s[48:49]
.LBB4_614:                              ;   in Loop: Header=BB4_282 Depth=3
	s_or_b64 exec, exec, s[18:19]
	v_add_f32_e32 v10, v11, v10
	v_and_b32_sdwa v2, v10, s66 dst_sel:DWORD dst_unused:UNUSED_PAD src0_sel:BYTE_3 src1_sel:DWORD
	v_and_b32_e32 v36, 0x7f800000, v10
	v_mov_b32_e32 v37, v55
	v_and_b32_e32 v54, 0x7fffff, v10
	v_or_b32_e32 v26, 0x7b, v2
	v_cmp_ne_u64_e32 vcc, s[38:39], v[36:37]
	s_and_saveexec_b64 s[18:19], vcc
	s_xor_b64 s[48:49], exec, s[18:19]
	s_cbranch_execz .LBB4_624
; %bb.615:                              ;   in Loop: Header=BB4_282 Depth=3
	v_and_b32_e32 v36, 0x7fffffff, v10
	v_mov_b32_e32 v37, v55
	v_cmp_gt_u64_e32 vcc, s[40:41], v[36:37]
	s_and_saveexec_b64 s[50:51], vcc
	s_cbranch_execz .LBB4_623
; %bb.616:                              ;   in Loop: Header=BB4_282 Depth=3
	v_cmp_ne_u32_e32 vcc, 0, v10
	v_mov_b32_e32 v26, 0
	s_and_saveexec_b64 s[52:53], vcc
	s_cbranch_execz .LBB4_622
; %bb.617:                              ;   in Loop: Header=BB4_282 Depth=3
	v_bfe_u32 v10, v10, 23, 8
	v_sub_u32_e32 v12, 0x71, v10
	v_cmp_gt_u32_e32 vcc, s67, v10
	v_cndmask_b32_e32 v12, 0, v12, vcc
	v_cmp_eq_u32_e32 vcc, 0, v10
	v_or_b32_e32 v13, 0x800000, v54
	v_cndmask_b32_e32 v12, v12, v49, vcc
	v_add_u32_e32 v11, 0xffffff81, v10
	v_cndmask_b32_e32 v54, v13, v54, vcc
	v_add_u32_e32 v10, 21, v12
	v_cndmask_b32_e32 v14, v11, v48, vcc
	v_lshlrev_b64 v[10:11], v10, -1
	v_add_u32_e32 v13, 20, v12
	v_lshrrev_b64 v[50:51], v12, v[54:55]
	v_not_b32_e32 v11, v11
	v_not_b32_e32 v10, v10
	v_lshlrev_b64 v[38:39], v13, 1
	v_lshrrev_b32_e32 v13, 23, v50
	v_and_b32_e32 v11, 0, v11
	v_and_b32_e32 v10, v54, v10
	v_add3_u32 v37, v12, v14, v13
	v_bfe_u32 v12, v50, 21, 1
	v_add_u32_e32 v12, -1, v12
	v_cmp_eq_u64_e32 vcc, v[10:11], v[38:39]
	v_cndmask_b32_e32 v10, 0, v12, vcc
	v_add_u32_e32 v10, v10, v50
	v_and_b32_e32 v10, 0x1fffff, v10
	v_add_co_u32_e32 v10, vcc, v10, v50
	v_add_u32_e32 v36, 14, v37
	v_addc_co_u32_e32 v11, vcc, 0, v51, vcc
	v_cmp_ne_u32_e32 vcc, 0, v36
                                        ; implicit-def: $vgpr26
	s_and_saveexec_b64 s[18:19], vcc
	s_xor_b64 s[18:19], exec, s[18:19]
; %bb.618:                              ;   in Loop: Header=BB4_282 Depth=3
	v_add_u32_e32 v12, 15, v37
	v_cmp_lt_u64_e32 vcc, s[42:43], v[10:11]
	v_cndmask_b32_e32 v26, v36, v12, vcc
	v_cndmask_b32_e64 v12, 0, 1, vcc
	v_lshrrev_b64 v[10:11], v12, v[10:11]
; %bb.619:                              ;   in Loop: Header=BB4_282 Depth=3
	s_andn2_saveexec_b64 s[18:19], s[18:19]
; %bb.620:                              ;   in Loop: Header=BB4_282 Depth=3
	v_bfe_u32 v26, v10, 23, 1
; %bb.621:                              ;   in Loop: Header=BB4_282 Depth=3
	s_or_b64 exec, exec, s[18:19]
	v_lshrrev_b64 v[10:11], 21, v[10:11]
	v_cmp_gt_i32_e32 vcc, 32, v26
	v_cndmask_b32_e32 v11, 0, v11, vcc
	v_cndmask_b32_e32 v10, 3, v10, vcc
	v_cmp_eq_u64_e64 s[18:19], 0, v[10:11]
	v_min_i32_e32 v11, 31, v26
	v_cmp_eq_u32_e32 vcc, 0, v26
	v_lshlrev_b32_e32 v11, 2, v11
	v_and_or_b32 v10, v10, 3, v11
	s_and_b64 s[18:19], vcc, s[18:19]
	v_cndmask_b32_e64 v10, v10, 0, s[18:19]
	v_or_b32_e32 v26, v10, v2
.LBB4_622:                              ;   in Loop: Header=BB4_282 Depth=3
	s_or_b64 exec, exec, s[52:53]
.LBB4_623:                              ;   in Loop: Header=BB4_282 Depth=3
	s_or_b64 exec, exec, s[50:51]
                                        ; implicit-def: $vgpr10
.LBB4_624:                              ;   in Loop: Header=BB4_282 Depth=3
	s_andn2_saveexec_b64 s[18:19], s[48:49]
; %bb.625:                              ;   in Loop: Header=BB4_282 Depth=3
	v_or_b32_sdwa v2, v10, s68 dst_sel:DWORD dst_unused:UNUSED_PAD src0_sel:BYTE_3 src1_sel:DWORD
	v_cmp_eq_u64_e32 vcc, 0, v[54:55]
	v_cndmask_b32_e32 v26, v2, v26, vcc
; %bb.626:                              ;   in Loop: Header=BB4_282 Depth=3
	s_or_b64 exec, exec, s[18:19]
	v_lshrrev_b32_e32 v2, 16, v18
	v_cmp_ne_u16_sdwa vcc, v2, v55 src0_sel:BYTE_0 src1_sel:DWORD
	v_mov_b32_e32 v10, 0
	v_mov_b32_e32 v11, 0
	s_and_saveexec_b64 s[18:19], vcc
	s_cbranch_execz .LBB4_634
; %bb.627:                              ;   in Loop: Header=BB4_282 Depth=3
	v_cmp_ne_u16_sdwa vcc, v2, s66 src0_sel:BYTE_0 src1_sel:DWORD
	v_bfrev_b32_e32 v11, 1
	s_and_saveexec_b64 s[48:49], vcc
	s_cbranch_execz .LBB4_633
; %bb.628:                              ;   in Loop: Header=BB4_282 Depth=3
	v_and_b32_e32 v11, 0x7c0000, v18
	v_bfe_u32 v36, v18, 16, 2
	v_cmp_ne_u32_e32 vcc, s69, v11
                                        ; implicit-def: $vgpr11
	s_and_saveexec_b64 s[50:51], vcc
	s_xor_b64 s[50:51], exec, s[50:51]
	s_cbranch_execz .LBB4_630
; %bb.629:                              ;   in Loop: Header=BB4_282 Depth=3
	v_ffbh_u32_e32 v12, v36
	v_min_u32_e32 v12, 32, v12
	v_bfe_u32 v11, v18, 18, 5
	v_subrev_u32_e32 v13, 29, v12
	v_lshlrev_b64 v[38:39], v13, v[2:3]
	v_sub_u32_e32 v2, 30, v12
	v_cmp_eq_u32_e32 vcc, 0, v11
	v_and_b32_e32 v12, 3, v38
	v_cndmask_b32_e32 v2, v11, v2, vcc
	v_cndmask_b32_e32 v11, v36, v12, vcc
	v_lshlrev_b32_e32 v12, 8, v18
	v_lshl_add_u32 v2, v2, 23, v7
	v_and_or_b32 v2, v12, s65, v2
	v_lshl_or_b32 v11, v11, 21, v2
                                        ; implicit-def: $vgpr36
                                        ; implicit-def: $vgpr2
.LBB4_630:                              ;   in Loop: Header=BB4_282 Depth=3
	s_andn2_saveexec_b64 s[50:51], s[50:51]
; %bb.631:                              ;   in Loop: Header=BB4_282 Depth=3
	v_cmp_gt_i16_sdwa vcc, sext(v2), v47 src0_sel:BYTE_0 src1_sel:DWORD
	v_cndmask_b32_e32 v2, v24, v25, vcc
	v_cmp_eq_u32_e32 vcc, 0, v36
	v_cndmask_b32_e32 v11, v6, v2, vcc
; %bb.632:                              ;   in Loop: Header=BB4_282 Depth=3
	s_or_b64 exec, exec, s[50:51]
.LBB4_633:                              ;   in Loop: Header=BB4_282 Depth=3
	s_or_b64 exec, exec, s[48:49]
.LBB4_634:                              ;   in Loop: Header=BB4_282 Depth=3
	s_or_b64 exec, exec, s[18:19]
	v_lshrrev_b32_e32 v2, 16, v27
	v_cmp_ne_u16_sdwa vcc, v2, v55 src0_sel:BYTE_0 src1_sel:DWORD
	s_and_saveexec_b64 s[18:19], vcc
	s_cbranch_execz .LBB4_642
; %bb.635:                              ;   in Loop: Header=BB4_282 Depth=3
	v_cmp_ne_u16_sdwa vcc, v2, s66 src0_sel:BYTE_0 src1_sel:DWORD
	v_bfrev_b32_e32 v10, 1
	s_and_saveexec_b64 s[48:49], vcc
	s_cbranch_execz .LBB4_641
; %bb.636:                              ;   in Loop: Header=BB4_282 Depth=3
	v_and_b32_e32 v10, 0x7c, v1
	v_bfe_u32 v36, v27, 16, 2
	v_cmp_ne_u32_e32 vcc, s64, v10
                                        ; implicit-def: $vgpr10
	s_and_saveexec_b64 s[50:51], vcc
	s_xor_b64 s[50:51], exec, s[50:51]
	s_cbranch_execz .LBB4_638
; %bb.637:                              ;   in Loop: Header=BB4_282 Depth=3
	v_ffbh_u32_e32 v12, v36
	v_min_u32_e32 v12, 32, v12
	v_bfe_u32 v10, v1, 2, 5
	v_subrev_u32_e32 v13, 29, v12
	v_lshlrev_b64 v[38:39], v13, v[2:3]
	v_sub_u32_e32 v2, 30, v12
	v_cmp_eq_u32_e32 vcc, 0, v10
	v_cndmask_b32_e32 v2, v10, v2, vcc
	v_and_b32_e32 v12, 3, v38
	v_lshlrev_b32_e32 v1, 24, v1
	v_lshl_add_u32 v2, v2, 23, v7
	v_cndmask_b32_e32 v10, v36, v12, vcc
	v_and_or_b32 v1, v1, s65, v2
	v_lshl_or_b32 v10, v10, 21, v1
                                        ; implicit-def: $vgpr36
                                        ; implicit-def: $vgpr2
.LBB4_638:                              ;   in Loop: Header=BB4_282 Depth=3
	s_andn2_saveexec_b64 s[50:51], s[50:51]
; %bb.639:                              ;   in Loop: Header=BB4_282 Depth=3
	v_cmp_gt_i16_sdwa vcc, sext(v2), v47 src0_sel:BYTE_0 src1_sel:DWORD
	v_cndmask_b32_e32 v1, v24, v25, vcc
	v_cmp_eq_u32_e32 vcc, 0, v36
	v_cndmask_b32_e32 v10, v6, v1, vcc
; %bb.640:                              ;   in Loop: Header=BB4_282 Depth=3
	s_or_b64 exec, exec, s[50:51]
.LBB4_641:                              ;   in Loop: Header=BB4_282 Depth=3
	s_or_b64 exec, exec, s[48:49]
.LBB4_642:                              ;   in Loop: Header=BB4_282 Depth=3
	s_or_b64 exec, exec, s[18:19]
	v_add_f32_e32 v10, v11, v10
	v_and_b32_sdwa v2, v10, s66 dst_sel:DWORD dst_unused:UNUSED_PAD src0_sel:BYTE_3 src1_sel:DWORD
	v_and_b32_e32 v36, 0x7f800000, v10
	v_mov_b32_e32 v37, v55
	v_and_b32_e32 v54, 0x7fffff, v10
	v_or_b32_e32 v1, 0x7b, v2
	v_cmp_ne_u64_e32 vcc, s[38:39], v[36:37]
	s_and_saveexec_b64 s[18:19], vcc
	s_xor_b64 s[48:49], exec, s[18:19]
	s_cbranch_execz .LBB4_652
; %bb.643:                              ;   in Loop: Header=BB4_282 Depth=3
	v_and_b32_e32 v36, 0x7fffffff, v10
	v_mov_b32_e32 v37, v55
	v_cmp_gt_u64_e32 vcc, s[40:41], v[36:37]
	s_and_saveexec_b64 s[50:51], vcc
	s_cbranch_execz .LBB4_651
; %bb.644:                              ;   in Loop: Header=BB4_282 Depth=3
	v_cmp_ne_u32_e32 vcc, 0, v10
	v_mov_b32_e32 v1, 0
	s_and_saveexec_b64 s[52:53], vcc
	s_cbranch_execz .LBB4_650
; %bb.645:                              ;   in Loop: Header=BB4_282 Depth=3
	v_bfe_u32 v1, v10, 23, 8
	v_sub_u32_e32 v11, 0x71, v1
	v_cmp_gt_u32_e32 vcc, s67, v1
	v_cndmask_b32_e32 v11, 0, v11, vcc
	v_cmp_eq_u32_e32 vcc, 0, v1
	v_add_u32_e32 v10, 0xffffff81, v1
	v_or_b32_e32 v12, 0x800000, v54
	v_cndmask_b32_e32 v13, v11, v49, vcc
	v_cndmask_b32_e32 v1, v10, v48, vcc
	v_cndmask_b32_e32 v54, v12, v54, vcc
	v_add_u32_e32 v10, 21, v13
	v_lshlrev_b64 v[10:11], v10, -1
	v_add_u32_e32 v12, 20, v13
	v_lshrrev_b64 v[50:51], v13, v[54:55]
	v_not_b32_e32 v11, v11
	v_not_b32_e32 v10, v10
	v_lshlrev_b64 v[38:39], v12, 1
	v_lshrrev_b32_e32 v12, 23, v50
	v_and_b32_e32 v11, 0, v11
	v_and_b32_e32 v10, v54, v10
	v_add3_u32 v37, v13, v1, v12
	v_bfe_u32 v1, v50, 21, 1
	v_add_u32_e32 v1, -1, v1
	v_cmp_eq_u64_e32 vcc, v[10:11], v[38:39]
	v_cndmask_b32_e32 v1, 0, v1, vcc
	v_add_u32_e32 v1, v1, v50
	v_and_b32_e32 v1, 0x1fffff, v1
	v_add_co_u32_e32 v10, vcc, v1, v50
	v_add_u32_e32 v36, 14, v37
	v_addc_co_u32_e32 v11, vcc, 0, v51, vcc
	v_cmp_ne_u32_e32 vcc, 0, v36
                                        ; implicit-def: $vgpr1
	s_and_saveexec_b64 s[18:19], vcc
	s_xor_b64 s[18:19], exec, s[18:19]
; %bb.646:                              ;   in Loop: Header=BB4_282 Depth=3
	v_cmp_lt_u64_e32 vcc, s[42:43], v[10:11]
	v_add_u32_e32 v1, 15, v37
	v_cndmask_b32_e64 v12, 0, 1, vcc
	v_cndmask_b32_e32 v1, v36, v1, vcc
	v_lshrrev_b64 v[10:11], v12, v[10:11]
; %bb.647:                              ;   in Loop: Header=BB4_282 Depth=3
	s_andn2_saveexec_b64 s[18:19], s[18:19]
; %bb.648:                              ;   in Loop: Header=BB4_282 Depth=3
	v_bfe_u32 v1, v10, 23, 1
; %bb.649:                              ;   in Loop: Header=BB4_282 Depth=3
	s_or_b64 exec, exec, s[18:19]
	v_lshrrev_b64 v[10:11], 21, v[10:11]
	v_cmp_gt_i32_e32 vcc, 32, v1
	v_cndmask_b32_e32 v11, 0, v11, vcc
	v_cndmask_b32_e32 v10, 3, v10, vcc
	v_cmp_eq_u32_e32 vcc, 0, v1
	v_min_i32_e32 v1, 31, v1
	v_lshlrev_b32_e32 v1, 2, v1
	v_cmp_eq_u64_e64 s[18:19], 0, v[10:11]
	v_and_b32_e32 v1, 0xfc, v1
	v_and_or_b32 v1, v10, 3, v1
	s_and_b64 s[18:19], vcc, s[18:19]
	v_cndmask_b32_e64 v1, v1, 0, s[18:19]
	v_or_b32_e32 v1, v1, v2
.LBB4_650:                              ;   in Loop: Header=BB4_282 Depth=3
	s_or_b64 exec, exec, s[52:53]
.LBB4_651:                              ;   in Loop: Header=BB4_282 Depth=3
	s_or_b64 exec, exec, s[50:51]
                                        ; implicit-def: $vgpr10
.LBB4_652:                              ;   in Loop: Header=BB4_282 Depth=3
	s_andn2_saveexec_b64 s[18:19], s[48:49]
; %bb.653:                              ;   in Loop: Header=BB4_282 Depth=3
	v_or_b32_sdwa v2, v10, s68 dst_sel:DWORD dst_unused:UNUSED_PAD src0_sel:BYTE_3 src1_sel:DWORD
	v_cmp_eq_u64_e32 vcc, 0, v[54:55]
	v_cndmask_b32_e32 v1, v2, v1, vcc
; %bb.654:                              ;   in Loop: Header=BB4_282 Depth=3
	s_or_b64 exec, exec, s[18:19]
	v_mov_b32_e32 v10, v55
	v_mov_b32_e32 v11, v18
	v_cmp_lt_u64_e32 vcc, s[36:37], v[10:11]
	v_mov_b32_e32 v36, 0
	v_mov_b32_e32 v37, 0
	s_and_saveexec_b64 s[18:19], vcc
	s_cbranch_execz .LBB4_662
; %bb.655:                              ;   in Loop: Header=BB4_282 Depth=3
	v_lshrrev_b32_e32 v2, 24, v18
	v_cmp_ne_u32_e32 vcc, s66, v2
	v_bfrev_b32_e32 v37, 1
	s_and_saveexec_b64 s[48:49], vcc
	s_cbranch_execz .LBB4_661
; %bb.656:                              ;   in Loop: Header=BB4_282 Depth=3
	v_and_b32_e32 v12, 0x7c000000, v18
	v_bfe_u32 v54, v18, 24, 2
	v_cmp_ne_u32_e32 vcc, s70, v12
                                        ; implicit-def: $vgpr37
	s_and_saveexec_b64 s[50:51], vcc
	s_xor_b64 s[50:51], exec, s[50:51]
	s_cbranch_execz .LBB4_658
; %bb.657:                              ;   in Loop: Header=BB4_282 Depth=3
	v_ffbh_u32_e32 v10, v54
	v_min_u32_e32 v13, 32, v10
	v_bfe_u32 v12, v18, 26, 5
	v_subrev_u32_e32 v10, 29, v13
	v_lshlrev_b64 v[10:11], v10, v[2:3]
	v_sub_u32_e32 v2, 30, v13
	v_cmp_eq_u32_e32 vcc, 0, v12
	v_cndmask_b32_e32 v2, v12, v2, vcc
	v_and_b32_e32 v10, 3, v10
	v_lshl_add_u32 v2, v2, 23, v7
	v_cndmask_b32_e32 v10, v54, v10, vcc
	v_and_or_b32 v2, v18, s65, v2
	v_lshl_or_b32 v37, v10, 21, v2
                                        ; implicit-def: $vgpr54
                                        ; implicit-def: $vgpr10_vgpr11
.LBB4_658:                              ;   in Loop: Header=BB4_282 Depth=3
	s_andn2_saveexec_b64 s[50:51], s[50:51]
; %bb.659:                              ;   in Loop: Header=BB4_282 Depth=3
	v_cmp_lt_i64_e32 vcc, -1, v[10:11]
	v_cndmask_b32_e32 v2, v24, v25, vcc
	v_cmp_eq_u32_e32 vcc, 0, v54
	v_cndmask_b32_e32 v37, v6, v2, vcc
; %bb.660:                              ;   in Loop: Header=BB4_282 Depth=3
	s_or_b64 exec, exec, s[50:51]
.LBB4_661:                              ;   in Loop: Header=BB4_282 Depth=3
	s_or_b64 exec, exec, s[48:49]
.LBB4_662:                              ;   in Loop: Header=BB4_282 Depth=3
	s_or_b64 exec, exec, s[18:19]
	v_cmp_lt_u32_e32 vcc, s37, v27
	s_and_saveexec_b64 s[18:19], vcc
	s_cbranch_execz .LBB4_670
; %bb.663:                              ;   in Loop: Header=BB4_282 Depth=3
	v_lshrrev_b32_e32 v2, 24, v27
	v_cmp_ne_u32_e32 vcc, s66, v2
	v_bfrev_b32_e32 v36, 1
	s_and_saveexec_b64 s[48:49], vcc
	s_cbranch_execz .LBB4_669
; %bb.664:                              ;   in Loop: Header=BB4_282 Depth=3
	v_and_b32_e32 v11, 0x7c000000, v27
	v_bfe_u32 v10, v27, 24, 2
	v_cmp_ne_u32_e32 vcc, s70, v11
                                        ; implicit-def: $vgpr36
	s_and_saveexec_b64 s[50:51], vcc
	s_xor_b64 s[50:51], exec, s[50:51]
	s_cbranch_execz .LBB4_666
; %bb.665:                              ;   in Loop: Header=BB4_282 Depth=3
	v_ffbh_u32_e32 v12, v10
	v_min_u32_e32 v12, 32, v12
	v_bfe_u32 v11, v27, 26, 5
	v_subrev_u32_e32 v13, 29, v12
	v_lshlrev_b64 v[38:39], v13, v[2:3]
	v_sub_u32_e32 v2, 30, v12
	v_cmp_eq_u32_e32 vcc, 0, v11
	v_cndmask_b32_e32 v2, v11, v2, vcc
	v_and_b32_e32 v12, 3, v38
	v_lshl_add_u32 v2, v2, 23, v7
	v_cndmask_b32_e32 v10, v10, v12, vcc
	v_and_or_b32 v2, v22, s65, v2
	v_lshl_or_b32 v36, v10, 21, v2
                                        ; implicit-def: $vgpr10
                                        ; implicit-def: $vgpr22
.LBB4_666:                              ;   in Loop: Header=BB4_282 Depth=3
	s_andn2_saveexec_b64 s[50:51], s[50:51]
; %bb.667:                              ;   in Loop: Header=BB4_282 Depth=3
	v_cmp_lt_i32_e32 vcc, -1, v22
	v_cndmask_b32_e32 v2, v24, v25, vcc
	v_cmp_eq_u32_e32 vcc, 0, v10
	v_cndmask_b32_e32 v36, v6, v2, vcc
; %bb.668:                              ;   in Loop: Header=BB4_282 Depth=3
	s_or_b64 exec, exec, s[50:51]
.LBB4_669:                              ;   in Loop: Header=BB4_282 Depth=3
	s_or_b64 exec, exec, s[48:49]
.LBB4_670:                              ;   in Loop: Header=BB4_282 Depth=3
	s_or_b64 exec, exec, s[18:19]
	v_add_f32_e32 v11, v37, v36
	v_and_b32_sdwa v2, v11, s66 dst_sel:DWORD dst_unused:UNUSED_PAD src0_sel:BYTE_3 src1_sel:DWORD
	v_and_b32_e32 v36, 0x7f800000, v11
	v_mov_b32_e32 v37, v55
	v_and_b32_e32 v54, 0x7fffff, v11
	v_or_b32_e32 v10, 0x7b, v2
	v_cmp_ne_u64_e32 vcc, s[38:39], v[36:37]
	s_and_saveexec_b64 s[18:19], vcc
	s_xor_b64 s[48:49], exec, s[18:19]
	s_cbranch_execz .LBB4_680
; %bb.671:                              ;   in Loop: Header=BB4_282 Depth=3
	v_and_b32_e32 v36, 0x7fffffff, v11
	v_mov_b32_e32 v37, v55
	v_cmp_gt_u64_e32 vcc, s[40:41], v[36:37]
	s_and_saveexec_b64 s[50:51], vcc
	s_cbranch_execz .LBB4_679
; %bb.672:                              ;   in Loop: Header=BB4_282 Depth=3
	v_cmp_ne_u32_e32 vcc, 0, v11
	v_mov_b32_e32 v10, 0
	s_and_saveexec_b64 s[52:53], vcc
	s_cbranch_execz .LBB4_678
; %bb.673:                              ;   in Loop: Header=BB4_282 Depth=3
	v_bfe_u32 v10, v11, 23, 8
	v_sub_u32_e32 v12, 0x71, v10
	v_cmp_gt_u32_e32 vcc, s67, v10
	v_cndmask_b32_e32 v12, 0, v12, vcc
	v_cmp_eq_u32_e32 vcc, 0, v10
	v_or_b32_e32 v13, 0x800000, v54
	v_cndmask_b32_e32 v12, v12, v49, vcc
	v_add_u32_e32 v11, 0xffffff81, v10
	v_cndmask_b32_e32 v54, v13, v54, vcc
	v_add_u32_e32 v10, 21, v12
	v_cndmask_b32_e32 v14, v11, v48, vcc
	v_lshlrev_b64 v[10:11], v10, -1
	v_add_u32_e32 v13, 20, v12
	v_lshrrev_b64 v[38:39], v12, v[54:55]
	v_not_b32_e32 v11, v11
	v_not_b32_e32 v10, v10
	v_lshlrev_b64 v[36:37], v13, 1
	v_lshrrev_b32_e32 v13, 23, v38
	v_and_b32_e32 v11, 0, v11
	v_and_b32_e32 v10, v54, v10
	v_add3_u32 v27, v12, v14, v13
	v_bfe_u32 v12, v38, 21, 1
	v_add_u32_e32 v12, -1, v12
	v_cmp_eq_u64_e32 vcc, v[10:11], v[36:37]
	v_cndmask_b32_e32 v10, 0, v12, vcc
	v_add_u32_e32 v10, v10, v38
	v_and_b32_e32 v10, 0x1fffff, v10
	v_add_co_u32_e32 v10, vcc, v10, v38
	v_add_u32_e32 v22, 14, v27
	v_addc_co_u32_e32 v11, vcc, 0, v39, vcc
	v_cmp_ne_u32_e32 vcc, 0, v22
                                        ; implicit-def: $vgpr18
	s_and_saveexec_b64 s[18:19], vcc
	s_xor_b64 s[18:19], exec, s[18:19]
; %bb.674:                              ;   in Loop: Header=BB4_282 Depth=3
	v_add_u32_e32 v12, 15, v27
	v_cmp_lt_u64_e32 vcc, s[42:43], v[10:11]
	v_cndmask_b32_e32 v18, v22, v12, vcc
	v_cndmask_b32_e64 v12, 0, 1, vcc
	v_lshrrev_b64 v[10:11], v12, v[10:11]
; %bb.675:                              ;   in Loop: Header=BB4_282 Depth=3
	s_andn2_saveexec_b64 s[18:19], s[18:19]
; %bb.676:                              ;   in Loop: Header=BB4_282 Depth=3
	v_bfe_u32 v18, v10, 23, 1
; %bb.677:                              ;   in Loop: Header=BB4_282 Depth=3
	s_or_b64 exec, exec, s[18:19]
	v_lshrrev_b64 v[10:11], 21, v[10:11]
	v_cmp_gt_i32_e32 vcc, 32, v18
	v_cndmask_b32_e32 v11, 0, v11, vcc
	v_cndmask_b32_e32 v10, 3, v10, vcc
	v_cmp_eq_u64_e64 s[18:19], 0, v[10:11]
	v_min_i32_e32 v11, 31, v18
	v_lshlrev_b32_e32 v11, 2, v11
	v_cmp_eq_u32_e32 vcc, 0, v18
	v_and_b32_e32 v11, 0xfc, v11
	v_and_or_b32 v10, v10, 3, v11
	s_and_b64 s[18:19], vcc, s[18:19]
	v_cndmask_b32_e64 v10, v10, 0, s[18:19]
	v_or_b32_e32 v10, v10, v2
.LBB4_678:                              ;   in Loop: Header=BB4_282 Depth=3
	s_or_b64 exec, exec, s[52:53]
.LBB4_679:                              ;   in Loop: Header=BB4_282 Depth=3
	s_or_b64 exec, exec, s[50:51]
                                        ; implicit-def: $vgpr11
.LBB4_680:                              ;   in Loop: Header=BB4_282 Depth=3
	s_andn2_saveexec_b64 s[18:19], s[48:49]
	s_cbranch_execz .LBB4_281
; %bb.681:                              ;   in Loop: Header=BB4_282 Depth=3
	v_or_b32_sdwa v2, v11, s68 dst_sel:DWORD dst_unused:UNUSED_PAD src0_sel:BYTE_3 src1_sel:DWORD
	v_cmp_eq_u64_e32 vcc, 0, v[54:55]
	v_cndmask_b32_e32 v10, v2, v10, vcc
	s_branch .LBB4_281
.LBB4_682:                              ;   in Loop: Header=BB4_238 Depth=2
	s_or_b64 exec, exec, s[46:47]
	v_accvgpr_read_b32 v51, a11
	v_accvgpr_read_b32 v44, a48
	;; [unrolled: 1-line block ×4, first 2 shown]
	s_or_b64 exec, exec, s[44:45]
	s_and_saveexec_b64 s[18:19], s[10:11]
	s_cbranch_execz .LBB4_242
.LBB4_683:                              ;   in Loop: Header=BB4_238 Depth=2
	s_and_saveexec_b64 vcc, s[28:29]
	s_xor_b64 s[44:45], exec, vcc
	s_cbranch_execz .LBB4_698
; %bb.684:                              ;   in Loop: Header=BB4_238 Depth=2
	s_and_saveexec_b64 s[46:47], s[12:13]
	s_cbranch_execz .LBB4_697
; %bb.685:                              ;   in Loop: Header=BB4_238 Depth=2
	s_mov_b64 s[50:51], exec
	v_mbcnt_lo_u32_b32 v1, s50, 0
	v_mbcnt_hi_u32_b32 v1, s51, v1
	v_cmp_eq_u32_e32 vcc, 0, v1
	s_waitcnt vmcnt(0) lgkmcnt(0)
	buffer_wbinvl1_vol
	s_and_saveexec_b64 s[48:49], vcc
	s_cbranch_execz .LBB4_687
; %bb.686:                              ;   in Loop: Header=BB4_238 Depth=2
	s_bcnt1_i32_b64 vcc_lo, s[50:51]
	v_mov_b32_e32 v54, vcc_lo
	ds_add_u64 v0, v[54:55]
	s_trap 2
.LBB4_687:                              ;   in Loop: Header=BB4_238 Depth=2
	s_or_b64 exec, exec, s[48:49]
	s_trap 2
	ds_read_b64 v[2:3], v0
	v_accvgpr_read_b32 v4, a36
	v_add_co_u32_e32 v42, vcc, v42, v4
	v_accvgpr_read_b32 v1, a47
	v_addc_co_u32_e32 v43, vcc, v43, v1, vcc
	s_waitcnt lgkmcnt(0)
	v_cmp_lt_u64_e32 vcc, v[2:3], v[42:43]
	s_and_saveexec_b64 s[48:49], vcc
	s_cbranch_execz .LBB4_696
; %bb.688:                              ;   in Loop: Header=BB4_238 Depth=2
	s_mov_b32 s77, 0
	s_mov_b64 s[50:51], 0
                                        ; implicit-def: $sgpr52_sgpr53
                                        ; implicit-def: $sgpr54_sgpr55
	s_branch .LBB4_690
.LBB4_689:                              ;   in Loop: Header=BB4_690 Depth=3
	s_or_b64 exec, exec, s[58:59]
	s_and_b64 vcc, exec, vcc
	s_or_b64 s[50:51], vcc, s[50:51]
	s_andn2_b64 vcc, s[52:53], exec
	s_and_b64 s[52:53], s[54:55], exec
	s_or_b64 s[52:53], vcc, s[52:53]
	s_andn2_b64 exec, exec, s[50:51]
	s_cbranch_execz .LBB4_694
.LBB4_690:                              ;   Parent Loop BB4_29 Depth=1
                                        ;     Parent Loop BB4_238 Depth=2
                                        ; =>    This Inner Loop Header: Depth=3
	s_add_i32 s77, s77, 1
	s_cmpk_lg_i32 s77, 0x2710
	s_cselect_b64 s[56:57], -1, 0
	s_and_b64 vcc, exec, s[56:57]
                                        ; implicit-def: $sgpr58_sgpr59
	s_cbranch_vccnz .LBB4_692
; %bb.691:                              ;   in Loop: Header=BB4_690 Depth=3
	s_trap 2
	ds_read_b64 v[2:3], v0
	s_andn2_b64 s[56:57], s[56:57], exec
	s_mov_b32 s77, 0
	s_mov_b64 s[58:59], -1
	s_waitcnt lgkmcnt(0)
	flat_load_dword v1, v[2:3] glc
	s_waitcnt vmcnt(0) lgkmcnt(0)
	buffer_invl2
	buffer_wbinvl1_vol
	v_cmp_eq_u32_e32 vcc, 0, v1
	s_and_b64 vcc, vcc, exec
	s_or_b64 s[56:57], s[56:57], vcc
.LBB4_692:                              ;   in Loop: Header=BB4_690 Depth=3
	s_andn2_b64 s[54:55], s[54:55], exec
	s_and_b64 s[58:59], s[58:59], exec
	s_mov_b64 vcc, -1
	s_or_b64 s[54:55], s[54:55], s[58:59]
	s_and_saveexec_b64 s[58:59], s[56:57]
	s_cbranch_execz .LBB4_689
; %bb.693:                              ;   in Loop: Header=BB4_690 Depth=3
	s_sleep 1
	s_trap 2
	ds_read_b64 v[2:3], v0
	s_andn2_b64 s[54:55], s[54:55], exec
	s_waitcnt lgkmcnt(0)
	v_cmp_ge_u64_e32 vcc, v[2:3], v[42:43]
	s_orn2_b64 vcc, vcc, exec
	s_branch .LBB4_689
.LBB4_694:                              ;   in Loop: Header=BB4_238 Depth=2
	s_or_b64 exec, exec, s[50:51]
	s_and_saveexec_b64 vcc, s[52:53]
	s_xor_b64 vcc, exec, vcc
	s_cbranch_execz .LBB4_696
; %bb.695:                              ;   in Loop: Header=BB4_238 Depth=2
	v_mov_b32_e32 v1, 1
	ds_write_b32 v0, v1
	s_trap 2
.LBB4_696:                              ;   in Loop: Header=BB4_238 Depth=2
	s_or_b64 exec, exec, s[48:49]
	;;#ASMSTART
	s_wakeup
	;;#ASMEND
.LBB4_697:                              ;   in Loop: Header=BB4_238 Depth=2
	s_or_b64 exec, exec, s[46:47]
.LBB4_698:                              ;   in Loop: Header=BB4_238 Depth=2
	s_andn2_saveexec_b64 vcc, s[44:45]
	s_cbranch_execz .LBB4_700
; %bb.699:                              ;   in Loop: Header=BB4_238 Depth=2
	s_waitcnt vmcnt(0) lgkmcnt(0)
	buffer_wbinvl1_vol
	s_barrier
.LBB4_700:                              ;   in Loop: Header=BB4_238 Depth=2
	s_or_b64 exec, exec, vcc
	s_or_b64 exec, exec, s[18:19]
	s_and_saveexec_b64 s[18:19], s[14:15]
	s_cbranch_execnz .LBB4_243
	s_branch .LBB4_244
.LBB4_701:                              ;   in Loop: Header=BB4_29 Depth=1
	v_accvgpr_write_b32 a52, v1
	v_accvgpr_write_b32 a51, v2
	v_pk_mov_b32 v[16:17], v[28:29], v[28:29] op_sel:[0,1]
	s_branch .LBB4_703
.LBB4_702:                              ;   in Loop: Header=BB4_29 Depth=1
	v_accvgpr_read_b32 v8, a30
	v_pk_mov_b32 v[16:17], v[28:29], v[28:29] op_sel:[0,1]
	v_accvgpr_read_b32 v9, a31
.LBB4_703:                              ;   in Loop: Header=BB4_29 Depth=1
	v_accvgpr_read_b32 v4, a51
	v_accvgpr_read_b32 v5, a52
; %bb.704:                              ;   in Loop: Header=BB4_29 Depth=1
	s_and_saveexec_b64 s[18:19], s[16:17]
	s_cbranch_execz .LBB4_1126
; %bb.705:                              ;   in Loop: Header=BB4_29 Depth=1
	v_accvgpr_read_b32 v0, a6
	v_accvgpr_read_b32 v1, a7
	flat_load_dword v10, v[0:1]
	s_waitcnt vmcnt(0) lgkmcnt(0)
	v_accvgpr_read_b32 v2, a12
	v_accvgpr_read_b32 v3, a13
	v_add_co_u32_e32 v2, vcc, v2, v4
	v_addc_co_u32_e32 v3, vcc, v3, v5, vcc
	v_accvgpr_read_b32 v0, a40
	v_add_co_u32_e32 v0, vcc, v0, v4
	v_and_b32_e32 v4, 7, v34
	v_accvgpr_read_b32 v1, a41
	v_mul_lo_u32 v4, v4, s60
	v_addc_co_u32_e32 v1, vcc, v1, v5, vcc
	v_ashrrev_i32_e32 v5, 31, v4
	v_lshlrev_b64 v[4:5], 4, v[4:5]
	v_accvgpr_read_b32 v12, a18
	v_accvgpr_read_b32 v13, a19
	v_add_co_u32_e32 v9, vcc, v12, v4
	v_addc_co_u32_e32 v44, vcc, v13, v5, vcc
	v_accvgpr_read_b32 v5, a32
	v_accvgpr_read_b32 v11, a3
	v_add_u32_e32 v8, 1, v34
	s_mov_b64 s[44:45], 0
	v_accvgpr_read_b32 v26, a2
	v_ashrrev_i32_e32 v4, 31, v10
	v_mul_lo_u32 v5, v5, v10
	v_mad_u64_u32 v[2:3], s[16:17], v11, v10, v[2:3]
	v_mul_lo_u32 v4, v11, v4
	v_add3_u32 v3, v5, v3, v4
	v_accvgpr_read_b32 v4, a38
	v_add_co_u32_e32 v18, vcc, v2, v4
	v_accvgpr_read_b32 v5, a33
	v_addc_co_u32_e32 v19, vcc, v3, v5, vcc
	s_branch .LBB4_707
.LBB4_706:                              ;   in Loop: Header=BB4_707 Depth=2
	v_add_co_u32_e32 v18, vcc, v18, v56
	v_addc_co_u32_e32 v19, vcc, v19, v57, vcc
	v_add_co_u32_e32 v0, vcc, v0, v56
	v_addc_co_u32_e32 v1, vcc, v1, v57, vcc
	v_sub_u32_e32 v46, v46, v56
	v_cmp_gt_i32_e32 vcc, 1, v46
	s_or_b64 s[44:45], vcc, s[44:45]
	v_add_u32_e32 v26, v26, v20
	s_andn2_b64 exec, exec, s[44:45]
	s_cbranch_execz .LBB4_1125
.LBB4_707:                              ;   Parent Loop BB4_29 Depth=1
                                        ; =>  This Loop Header: Depth=2
                                        ;       Child Loop BB4_715 Depth 3
	v_and_b32_e32 v2, -4, v18
	v_mov_b32_e32 v3, v19
	global_load_dword v28, v[2:3], off glc slc
	v_min_u32_e32 v4, 8, v46
	v_and_b32_e32 v5, 3, v18
	v_add_co_u32_e32 v4, vcc, v5, v4
	v_addc_co_u32_e64 v5, s[16:17], 0, 0, vcc
	v_mov_b32_e32 v21, 0
	v_cmp_lt_u64_e32 vcc, 4, v[4:5]
	v_mov_b32_e32 v22, 0
	s_and_saveexec_b64 s[16:17], vcc
	s_cbranch_execz .LBB4_709
; %bb.708:                              ;   in Loop: Header=BB4_707 Depth=2
	global_load_dword v22, v[2:3], off offset:4 glc slc
.LBB4_709:                              ;   in Loop: Header=BB4_707 Depth=2
	s_or_b64 exec, exec, s[16:17]
	v_cmp_lt_u64_e32 vcc, 8, v[4:5]
	s_and_saveexec_b64 s[16:17], vcc
	s_cbranch_execz .LBB4_711
; %bb.710:                              ;   in Loop: Header=BB4_707 Depth=2
	global_load_dword v21, v[2:3], off offset:8 glc slc
.LBB4_711:                              ;   in Loop: Header=BB4_707 Depth=2
	s_or_b64 exec, exec, s[16:17]
	v_ashrrev_i32_e32 v27, 31, v26
	v_lshlrev_b64 v[2:3], 4, v[26:27]
	v_add_co_u32_e32 v10, vcc, v9, v2
	v_addc_co_u32_e32 v11, vcc, v44, v3, vcc
	global_load_dwordx4 v[2:5], v[10:11], off glc slc
	v_cmp_eq_u32_e32 vcc, 0, v30
	s_and_saveexec_b64 s[46:47], vcc
	s_cbranch_execz .LBB4_723
; %bb.712:                              ;   in Loop: Header=BB4_707 Depth=2
	s_waitcnt vmcnt(0)
	v_cmp_ne_u32_e32 vcc, v8, v3
	v_cmp_ne_u32_e64 s[16:17], v8, v5
	s_or_b64 s[16:17], vcc, s[16:17]
	v_mov_b32_e32 v30, 0
	s_and_saveexec_b64 s[48:49], s[16:17]
	s_cbranch_execz .LBB4_722
; %bb.713:                              ;   in Loop: Header=BB4_707 Depth=2
	s_mov_b32 s54, 1
	s_mov_b64 s[50:51], 0
	v_mov_b32_e32 v30, 0
	s_branch .LBB4_715
.LBB4_714:                              ;   in Loop: Header=BB4_715 Depth=3
	s_or_b64 exec, exec, s[52:53]
	s_and_b64 s[16:17], exec, s[16:17]
	s_or_b64 s[50:51], s[16:17], s[50:51]
	s_andn2_b64 exec, exec, s[50:51]
	s_cbranch_execz .LBB4_721
.LBB4_715:                              ;   Parent Loop BB4_29 Depth=1
                                        ;     Parent Loop BB4_707 Depth=2
                                        ; =>    This Inner Loop Header: Depth=3
	global_load_dwordx4 v[2:5], v[10:11], off glc slc
	s_add_i32 s54, s54, 1
	s_cmpk_lg_i32 s54, 0x2710
	s_cbranch_scc1 .LBB4_719
; %bb.716:                              ;   in Loop: Header=BB4_715 Depth=3
	s_trap 2
	ds_read_b64 v[32:33], v0
	s_waitcnt vmcnt(0) lgkmcnt(0)
	flat_load_dword v23, v[32:33] glc
	s_waitcnt vmcnt(0) lgkmcnt(0)
	buffer_invl2
	buffer_wbinvl1_vol
	v_cmp_ne_u32_e32 vcc, 0, v23
	s_and_saveexec_b64 s[16:17], vcc
	s_cbranch_execz .LBB4_718
; %bb.717:                              ;   in Loop: Header=BB4_715 Depth=3
	v_mov_b32_e32 v30, 1
	ds_write_b32 v0, v23
	s_trap 2
.LBB4_718:                              ;   in Loop: Header=BB4_715 Depth=3
	s_or_b64 exec, exec, s[16:17]
	s_mov_b32 s54, 0
	v_mov_b32_e32 v23, v30
	v_cmp_eq_u32_e32 vcc, 0, v23
	s_mov_b64 s[16:17], -1
	s_and_saveexec_b64 s[52:53], vcc
	s_cbranch_execz .LBB4_714
	s_branch .LBB4_720
.LBB4_719:                              ;   in Loop: Header=BB4_715 Depth=3
	v_mov_b32_e32 v23, 0
	v_cmp_eq_u32_e32 vcc, 0, v23
	s_mov_b64 s[16:17], -1
	s_and_saveexec_b64 s[52:53], vcc
	s_cbranch_execz .LBB4_714
.LBB4_720:                              ;   in Loop: Header=BB4_715 Depth=3
	s_waitcnt vmcnt(0)
	v_cmp_eq_u32_e32 vcc, v8, v3
	v_cmp_eq_u32_e64 s[16:17], v8, v5
	s_and_b64 s[16:17], vcc, s[16:17]
	s_orn2_b64 s[16:17], s[16:17], exec
	s_branch .LBB4_714
.LBB4_721:                              ;   in Loop: Header=BB4_707 Depth=2
	s_or_b64 exec, exec, s[50:51]
.LBB4_722:                              ;   in Loop: Header=BB4_707 Depth=2
	s_or_b64 exec, exec, s[48:49]
.LBB4_723:                              ;   in Loop: Header=BB4_707 Depth=2
	s_or_b64 exec, exec, s[46:47]
	v_lshlrev_b32_e32 v23, 3, v18
	s_waitcnt vmcnt(0)
	v_alignbit_b32 v54, v22, v28, v23
	v_cmp_ne_u16_sdwa vcc, v54, v55 src0_sel:BYTE_0 src1_sel:DWORD
	v_mov_b32_e32 v10, 0
	s_and_saveexec_b64 s[16:17], vcc
	s_cbranch_execz .LBB4_731
; %bb.724:                              ;   in Loop: Header=BB4_707 Depth=2
	v_cmp_ne_u16_sdwa vcc, sext(v54), s63 src0_sel:BYTE_0 src1_sel:DWORD
	v_bfrev_b32_e32 v10, 1
	s_and_saveexec_b64 s[46:47], vcc
	s_cbranch_execz .LBB4_730
; %bb.725:                              ;   in Loop: Header=BB4_707 Depth=2
	v_and_b32_e32 v10, 0x7c, v54
	v_and_b32_e32 v11, 3, v54
	v_cmp_ne_u32_e32 vcc, s64, v10
                                        ; implicit-def: $vgpr10
	s_and_saveexec_b64 s[48:49], vcc
	s_xor_b64 s[48:49], exec, s[48:49]
	s_cbranch_execz .LBB4_727
; %bb.726:                              ;   in Loop: Header=BB4_707 Depth=2
	v_ffbh_u32_e32 v27, v11
	v_bfe_u32 v10, v54, 2, 5
	v_min_u32_e32 v27, 32, v27
	v_subrev_u32_e32 v28, 29, v27
	v_sub_u32_e32 v27, 30, v27
	v_cmp_eq_u32_e32 vcc, 0, v10
	v_lshlrev_b64 v[28:29], v28, v[54:55]
	v_cndmask_b32_e32 v10, v10, v27, vcc
	v_and_b32_e32 v28, 3, v28
	v_lshlrev_b32_e32 v27, 24, v54
	v_lshl_add_u32 v10, v10, 23, v7
	v_cndmask_b32_e32 v11, v11, v28, vcc
	v_and_or_b32 v10, v27, s65, v10
	v_lshl_or_b32 v10, v11, 21, v10
                                        ; implicit-def: $vgpr11
.LBB4_727:                              ;   in Loop: Header=BB4_707 Depth=2
	s_andn2_saveexec_b64 s[48:49], s[48:49]
; %bb.728:                              ;   in Loop: Header=BB4_707 Depth=2
	v_cmp_gt_i16_sdwa vcc, sext(v54), v47 src0_sel:BYTE_0 src1_sel:DWORD
	v_cndmask_b32_e32 v10, v24, v25, vcc
	v_cmp_eq_u32_e32 vcc, 0, v11
	v_cndmask_b32_e32 v10, v6, v10, vcc
; %bb.729:                              ;   in Loop: Header=BB4_707 Depth=2
	s_or_b64 exec, exec, s[48:49]
.LBB4_730:                              ;   in Loop: Header=BB4_707 Depth=2
	s_or_b64 exec, exec, s[46:47]
.LBB4_731:                              ;   in Loop: Header=BB4_707 Depth=2
	s_or_b64 exec, exec, s[16:17]
	v_mul_f32_e32 v11, v62, v10
	v_and_b32_sdwa v27, v11, s66 dst_sel:DWORD dst_unused:UNUSED_PAD src0_sel:BYTE_3 src1_sel:DWORD
	v_and_b32_e32 v32, 0x7f800000, v11
	v_mov_b32_e32 v33, v55
	v_and_b32_e32 v28, 0x7fffff, v11
	v_mov_b32_e32 v29, v55
	v_or_b32_e32 v10, 0x7b, v27
	v_cmp_ne_u64_e32 vcc, s[38:39], v[32:33]
	s_and_saveexec_b64 s[16:17], vcc
	s_xor_b64 s[46:47], exec, s[16:17]
	s_cbranch_execz .LBB4_741
; %bb.732:                              ;   in Loop: Header=BB4_707 Depth=2
	v_and_b32_e32 v32, 0x7fffffff, v11
	v_mov_b32_e32 v33, v55
	v_cmp_gt_u64_e32 vcc, s[40:41], v[32:33]
	s_and_saveexec_b64 s[48:49], vcc
	s_cbranch_execz .LBB4_740
; %bb.733:                              ;   in Loop: Header=BB4_707 Depth=2
	v_cmp_ne_u32_e32 vcc, 0, v11
	v_mov_b32_e32 v10, 0
	s_and_saveexec_b64 s[50:51], vcc
	s_cbranch_execz .LBB4_739
; %bb.734:                              ;   in Loop: Header=BB4_707 Depth=2
	v_bfe_u32 v10, v11, 23, 8
	v_sub_u32_e32 v31, 0x71, v10
	v_cmp_gt_u32_e32 vcc, s67, v10
	v_cndmask_b32_e32 v31, 0, v31, vcc
	v_cmp_eq_u32_e32 vcc, 0, v10
	v_cndmask_b32_e32 v31, v31, v49, vcc
	v_add_u32_e32 v11, 0xffffff81, v10
	v_or_b32_e32 v32, 0x800000, v28
	v_add_u32_e32 v10, 21, v31
	v_cndmask_b32_e32 v38, v11, v48, vcc
	v_cndmask_b32_e32 v28, v32, v28, vcc
	v_lshlrev_b64 v[10:11], v10, -1
	v_not_b32_e32 v10, v10
	v_lshrrev_b64 v[36:37], v31, v[28:29]
	v_not_b32_e32 v11, v11
	v_and_b32_e32 v10, v28, v10
	v_add_u32_e32 v32, 20, v31
	v_lshrrev_b32_e32 v28, 23, v36
	v_and_b32_e32 v11, 0, v11
	v_lshlrev_b64 v[32:33], v32, 1
	v_add3_u32 v31, v31, v38, v28
	v_bfe_u32 v28, v36, 21, 1
	v_add_u32_e32 v28, -1, v28
	v_cmp_eq_u64_e32 vcc, v[10:11], v[32:33]
	v_cndmask_b32_e32 v10, 0, v28, vcc
	v_add_u32_e32 v10, v10, v36
	v_and_b32_e32 v10, 0x1fffff, v10
	v_add_co_u32_e32 v10, vcc, v10, v36
	v_add_u32_e32 v29, 14, v31
	v_addc_co_u32_e32 v11, vcc, 0, v37, vcc
	v_cmp_ne_u32_e32 vcc, 0, v29
                                        ; implicit-def: $vgpr28
	s_and_saveexec_b64 s[16:17], vcc
	s_xor_b64 s[16:17], exec, s[16:17]
; %bb.735:                              ;   in Loop: Header=BB4_707 Depth=2
	v_add_u32_e32 v28, 15, v31
	v_cmp_lt_u64_e32 vcc, s[42:43], v[10:11]
	v_cndmask_b32_e32 v28, v29, v28, vcc
	v_cndmask_b32_e64 v29, 0, 1, vcc
	v_lshrrev_b64 v[10:11], v29, v[10:11]
; %bb.736:                              ;   in Loop: Header=BB4_707 Depth=2
	s_andn2_saveexec_b64 s[16:17], s[16:17]
; %bb.737:                              ;   in Loop: Header=BB4_707 Depth=2
	v_bfe_u32 v28, v10, 23, 1
; %bb.738:                              ;   in Loop: Header=BB4_707 Depth=2
	s_or_b64 exec, exec, s[16:17]
	v_lshrrev_b64 v[10:11], 21, v[10:11]
	v_cmp_gt_i32_e32 vcc, 32, v28
	v_cndmask_b32_e32 v11, 0, v11, vcc
	v_cndmask_b32_e32 v10, 3, v10, vcc
	v_cmp_eq_u64_e64 s[16:17], 0, v[10:11]
	v_min_i32_e32 v11, 31, v28
	v_cmp_eq_u32_e32 vcc, 0, v28
	v_lshlrev_b32_e32 v11, 2, v11
	v_and_or_b32 v10, v10, 3, v11
	s_and_b64 s[16:17], vcc, s[16:17]
	v_cndmask_b32_e64 v10, v10, 0, s[16:17]
	v_or_b32_e32 v10, v10, v27
.LBB4_739:                              ;   in Loop: Header=BB4_707 Depth=2
	s_or_b64 exec, exec, s[50:51]
.LBB4_740:                              ;   in Loop: Header=BB4_707 Depth=2
	s_or_b64 exec, exec, s[48:49]
                                        ; implicit-def: $vgpr11
                                        ; implicit-def: $vgpr28_vgpr29
.LBB4_741:                              ;   in Loop: Header=BB4_707 Depth=2
	s_andn2_saveexec_b64 s[16:17], s[46:47]
; %bb.742:                              ;   in Loop: Header=BB4_707 Depth=2
	v_or_b32_sdwa v11, v11, s68 dst_sel:DWORD dst_unused:UNUSED_PAD src0_sel:BYTE_3 src1_sel:DWORD
	v_cmp_eq_u64_e32 vcc, 0, v[28:29]
	v_cndmask_b32_e32 v10, v11, v10, vcc
; %bb.743:                              ;   in Loop: Header=BB4_707 Depth=2
	s_or_b64 exec, exec, s[16:17]
	v_lshrrev_b16_e32 v28, 8, v54
	v_cmp_ne_u16_e32 vcc, 0, v28
	v_mov_b32_e32 v11, 0
	s_and_saveexec_b64 s[16:17], vcc
	s_cbranch_execz .LBB4_751
; %bb.744:                              ;   in Loop: Header=BB4_707 Depth=2
	v_cmp_ne_u16_e32 vcc, s66, v28
	v_bfrev_b32_e32 v11, 1
	s_and_saveexec_b64 s[46:47], vcc
	s_cbranch_execz .LBB4_750
; %bb.745:                              ;   in Loop: Header=BB4_707 Depth=2
	v_and_b32_e32 v11, 0x7c, v28
	v_and_b32_e32 v27, 3, v28
	v_cmp_ne_u32_e32 vcc, s64, v11
                                        ; implicit-def: $vgpr11
	s_and_saveexec_b64 s[48:49], vcc
	s_xor_b64 s[48:49], exec, s[48:49]
	s_cbranch_execz .LBB4_747
; %bb.746:                              ;   in Loop: Header=BB4_707 Depth=2
	v_ffbh_u32_e32 v31, v27
	v_min_u32_e32 v31, 32, v31
	v_mov_b32_e32 v29, v55
	v_subrev_u32_e32 v32, 29, v31
	v_bfe_u32 v11, v28, 2, 5
	v_lshlrev_b64 v[28:29], v32, v[28:29]
	v_sub_u32_e32 v29, 30, v31
	v_cmp_eq_u32_e32 vcc, 0, v11
	v_and_b32_e32 v28, 3, v28
	v_cndmask_b32_e32 v11, v11, v29, vcc
	v_cndmask_b32_e32 v27, v27, v28, vcc
	v_lshlrev_b32_e32 v28, 16, v54
	v_lshl_add_u32 v11, v11, 23, v7
	v_and_or_b32 v11, v28, s65, v11
	v_lshl_or_b32 v11, v27, 21, v11
                                        ; implicit-def: $vgpr27
.LBB4_747:                              ;   in Loop: Header=BB4_707 Depth=2
	s_andn2_saveexec_b64 s[48:49], s[48:49]
; %bb.748:                              ;   in Loop: Header=BB4_707 Depth=2
	v_cmp_lt_i16_e32 vcc, -1, v54
	v_cndmask_b32_e32 v11, v24, v25, vcc
	v_cmp_eq_u32_e32 vcc, 0, v27
	v_cndmask_b32_e32 v11, v6, v11, vcc
; %bb.749:                              ;   in Loop: Header=BB4_707 Depth=2
	s_or_b64 exec, exec, s[48:49]
.LBB4_750:                              ;   in Loop: Header=BB4_707 Depth=2
	s_or_b64 exec, exec, s[46:47]
.LBB4_751:                              ;   in Loop: Header=BB4_707 Depth=2
	s_or_b64 exec, exec, s[16:17]
	v_mul_f32_e32 v31, v62, v11
	v_and_b32_sdwa v27, v31, s66 dst_sel:DWORD dst_unused:UNUSED_PAD src0_sel:BYTE_3 src1_sel:DWORD
	v_and_b32_e32 v32, 0x7f800000, v31
	v_mov_b32_e32 v33, v55
	v_and_b32_e32 v28, 0x7fffff, v31
	v_mov_b32_e32 v29, v55
	v_or_b32_e32 v11, 0x7b, v27
	v_cmp_ne_u64_e32 vcc, s[38:39], v[32:33]
	s_and_saveexec_b64 s[16:17], vcc
	s_xor_b64 s[46:47], exec, s[16:17]
	s_cbranch_execz .LBB4_761
; %bb.752:                              ;   in Loop: Header=BB4_707 Depth=2
	v_and_b32_e32 v32, 0x7fffffff, v31
	v_mov_b32_e32 v33, v55
	v_cmp_gt_u64_e32 vcc, s[40:41], v[32:33]
	s_and_saveexec_b64 s[48:49], vcc
	s_cbranch_execz .LBB4_760
; %bb.753:                              ;   in Loop: Header=BB4_707 Depth=2
	v_cmp_ne_u32_e32 vcc, 0, v31
	v_mov_b32_e32 v11, 0
	s_and_saveexec_b64 s[50:51], vcc
	s_cbranch_execz .LBB4_759
; %bb.754:                              ;   in Loop: Header=BB4_707 Depth=2
	v_bfe_u32 v11, v31, 23, 8
	v_sub_u32_e32 v32, 0x71, v11
	v_cmp_gt_u32_e32 vcc, s67, v11
	v_add_u32_e32 v31, 0xffffff81, v11
	v_cndmask_b32_e32 v32, 0, v32, vcc
	v_cmp_eq_u32_e32 vcc, 0, v11
	v_cndmask_b32_e32 v11, v31, v48, vcc
	v_cndmask_b32_e32 v31, v32, v49, vcc
	v_or_b32_e32 v33, 0x800000, v28
	v_add_u32_e32 v32, 21, v31
	v_cndmask_b32_e32 v28, v33, v28, vcc
	v_lshlrev_b64 v[32:33], v32, -1
	v_not_b32_e32 v32, v32
	v_and_b32_e32 v36, v28, v32
	v_add_u32_e32 v32, 20, v31
	v_lshrrev_b64 v[28:29], v31, v[28:29]
	v_not_b32_e32 v33, v33
	v_lshlrev_b64 v[40:41], v32, 1
	v_lshrrev_b32_e32 v32, 23, v28
	v_and_b32_e32 v37, 0, v33
	v_add3_u32 v32, v31, v11, v32
	v_bfe_u32 v11, v28, 21, 1
	v_add_u32_e32 v11, -1, v11
	v_cmp_eq_u64_e32 vcc, v[36:37], v[40:41]
	v_cndmask_b32_e32 v11, 0, v11, vcc
	v_add_u32_e32 v11, v11, v28
	v_and_b32_e32 v11, 0x1fffff, v11
	v_add_co_u32_e32 v28, vcc, v11, v28
	v_add_u32_e32 v31, 14, v32
	v_addc_co_u32_e32 v29, vcc, 0, v29, vcc
	v_cmp_ne_u32_e32 vcc, 0, v31
                                        ; implicit-def: $vgpr11
	s_and_saveexec_b64 s[16:17], vcc
	s_xor_b64 s[16:17], exec, s[16:17]
; %bb.755:                              ;   in Loop: Header=BB4_707 Depth=2
	v_add_u32_e32 v11, 15, v32
	v_cmp_lt_u64_e32 vcc, s[42:43], v[28:29]
	v_cndmask_b32_e32 v11, v31, v11, vcc
	v_cndmask_b32_e64 v31, 0, 1, vcc
	v_lshrrev_b64 v[28:29], v31, v[28:29]
; %bb.756:                              ;   in Loop: Header=BB4_707 Depth=2
	s_andn2_saveexec_b64 s[16:17], s[16:17]
; %bb.757:                              ;   in Loop: Header=BB4_707 Depth=2
	v_bfe_u32 v11, v28, 23, 1
; %bb.758:                              ;   in Loop: Header=BB4_707 Depth=2
	s_or_b64 exec, exec, s[16:17]
	v_lshrrev_b64 v[28:29], 21, v[28:29]
	v_cmp_gt_i32_e32 vcc, 32, v11
	v_cndmask_b32_e32 v29, 0, v29, vcc
	v_cndmask_b32_e32 v28, 3, v28, vcc
	v_cmp_eq_u32_e32 vcc, 0, v11
	v_min_i32_e32 v11, 31, v11
	v_cmp_eq_u64_e64 s[16:17], 0, v[28:29]
	v_lshlrev_b32_e32 v11, 2, v11
	v_and_or_b32 v11, v28, 3, v11
	s_and_b64 s[16:17], vcc, s[16:17]
	v_cndmask_b32_e64 v11, v11, 0, s[16:17]
	v_or_b32_e32 v11, v11, v27
.LBB4_759:                              ;   in Loop: Header=BB4_707 Depth=2
	s_or_b64 exec, exec, s[50:51]
.LBB4_760:                              ;   in Loop: Header=BB4_707 Depth=2
	s_or_b64 exec, exec, s[48:49]
                                        ; implicit-def: $vgpr31
                                        ; implicit-def: $vgpr28_vgpr29
.LBB4_761:                              ;   in Loop: Header=BB4_707 Depth=2
	s_andn2_saveexec_b64 s[16:17], s[46:47]
; %bb.762:                              ;   in Loop: Header=BB4_707 Depth=2
	v_or_b32_sdwa v27, v31, s68 dst_sel:DWORD dst_unused:UNUSED_PAD src0_sel:BYTE_3 src1_sel:DWORD
	v_cmp_eq_u64_e32 vcc, 0, v[28:29]
	v_cndmask_b32_e32 v11, v27, v11, vcc
; %bb.763:                              ;   in Loop: Header=BB4_707 Depth=2
	s_or_b64 exec, exec, s[16:17]
	v_and_b32_sdwa v29, v54, s62 dst_sel:DWORD dst_unused:UNUSED_PAD src0_sel:WORD_1 src1_sel:DWORD
	v_lshrrev_b32_e32 v28, 16, v54
	v_cmp_ne_u16_e32 vcc, 0, v29
	v_mov_b32_e32 v27, 0
	s_and_saveexec_b64 s[16:17], vcc
	s_cbranch_execz .LBB4_771
; %bb.764:                              ;   in Loop: Header=BB4_707 Depth=2
	v_cmp_ne_u16_e32 vcc, s66, v29
	v_bfrev_b32_e32 v27, 1
	s_and_saveexec_b64 s[46:47], vcc
	s_cbranch_execz .LBB4_770
; %bb.765:                              ;   in Loop: Header=BB4_707 Depth=2
	v_and_b32_e32 v27, 0x7c0000, v54
	v_bfe_u32 v29, v54, 16, 2
	v_cmp_ne_u32_e32 vcc, s69, v27
                                        ; implicit-def: $vgpr27
	s_and_saveexec_b64 s[48:49], vcc
	s_xor_b64 s[48:49], exec, s[48:49]
	s_cbranch_execz .LBB4_767
; %bb.766:                              ;   in Loop: Header=BB4_707 Depth=2
	v_ffbh_u32_e32 v31, v29
	v_min_u32_e32 v31, 32, v31
	v_lshrrev_b32_e32 v28, 16, v54
	v_bfe_u32 v27, v54, 18, 5
	v_subrev_u32_e32 v32, 29, v31
	v_lshlrev_b64 v[32:33], v32, v[28:29]
	v_sub_u32_e32 v28, 30, v31
	v_cmp_eq_u32_e32 vcc, 0, v27
	v_and_b32_e32 v31, 3, v32
	v_cndmask_b32_e32 v27, v27, v28, vcc
	v_cndmask_b32_e32 v28, v29, v31, vcc
	v_lshlrev_b32_e32 v29, 8, v54
	v_lshl_add_u32 v27, v27, 23, v7
	v_and_or_b32 v27, v29, s65, v27
	v_lshl_or_b32 v27, v28, 21, v27
                                        ; implicit-def: $vgpr29
                                        ; implicit-def: $vgpr28
.LBB4_767:                              ;   in Loop: Header=BB4_707 Depth=2
	s_andn2_saveexec_b64 s[48:49], s[48:49]
; %bb.768:                              ;   in Loop: Header=BB4_707 Depth=2
	v_cmp_gt_i16_sdwa vcc, sext(v28), v47 src0_sel:BYTE_0 src1_sel:DWORD
	v_cndmask_b32_e32 v27, v24, v25, vcc
	v_cmp_eq_u32_e32 vcc, 0, v29
	v_cndmask_b32_e32 v27, v6, v27, vcc
; %bb.769:                              ;   in Loop: Header=BB4_707 Depth=2
	s_or_b64 exec, exec, s[48:49]
.LBB4_770:                              ;   in Loop: Header=BB4_707 Depth=2
	s_or_b64 exec, exec, s[46:47]
.LBB4_771:                              ;   in Loop: Header=BB4_707 Depth=2
	s_or_b64 exec, exec, s[16:17]
	v_mul_f32_e32 v29, v62, v27
	v_and_b32_sdwa v27, v29, s66 dst_sel:DWORD dst_unused:UNUSED_PAD src0_sel:BYTE_3 src1_sel:DWORD
	v_and_b32_e32 v32, 0x7f800000, v29
	v_mov_b32_e32 v33, v55
	v_and_b32_e32 v40, 0x7fffff, v29
	v_mov_b32_e32 v41, v55
	v_or_b32_e32 v28, 0x7b, v27
	v_cmp_ne_u64_e32 vcc, s[38:39], v[32:33]
	s_and_saveexec_b64 s[16:17], vcc
	s_xor_b64 s[46:47], exec, s[16:17]
	s_cbranch_execz .LBB4_781
; %bb.772:                              ;   in Loop: Header=BB4_707 Depth=2
	v_and_b32_e32 v32, 0x7fffffff, v29
	v_mov_b32_e32 v33, v55
	v_cmp_gt_u64_e32 vcc, s[40:41], v[32:33]
	s_and_saveexec_b64 s[48:49], vcc
	s_cbranch_execz .LBB4_780
; %bb.773:                              ;   in Loop: Header=BB4_707 Depth=2
	v_cmp_ne_u32_e32 vcc, 0, v29
	v_mov_b32_e32 v28, 0
	s_and_saveexec_b64 s[50:51], vcc
	s_cbranch_execz .LBB4_779
; %bb.774:                              ;   in Loop: Header=BB4_707 Depth=2
	v_bfe_u32 v28, v29, 23, 8
	v_sub_u32_e32 v31, 0x71, v28
	v_cmp_gt_u32_e32 vcc, s67, v28
	v_cndmask_b32_e32 v31, 0, v31, vcc
	v_cmp_eq_u32_e32 vcc, 0, v28
	v_cndmask_b32_e32 v31, v31, v49, vcc
	v_add_u32_e32 v29, 0xffffff81, v28
	v_add_u32_e32 v28, 21, v31
	v_or_b32_e32 v32, 0x800000, v40
	v_cndmask_b32_e32 v33, v29, v48, vcc
	v_lshlrev_b64 v[28:29], v28, -1
	v_cndmask_b32_e32 v40, v32, v40, vcc
	v_not_b32_e32 v28, v28
	v_and_b32_e32 v28, v40, v28
	v_add_u32_e32 v32, 20, v31
	v_lshrrev_b64 v[40:41], v31, v[40:41]
	v_not_b32_e32 v29, v29
	v_lshlrev_b64 v[36:37], v32, 1
	v_lshrrev_b32_e32 v32, 23, v40
	v_and_b32_e32 v29, 0, v29
	v_add3_u32 v33, v31, v33, v32
	v_bfe_u32 v31, v40, 21, 1
	v_add_u32_e32 v31, -1, v31
	v_cmp_eq_u64_e32 vcc, v[28:29], v[36:37]
	v_cndmask_b32_e32 v28, 0, v31, vcc
	v_add_u32_e32 v28, v28, v40
	v_and_b32_e32 v28, 0x1fffff, v28
	v_add_co_u32_e32 v28, vcc, v28, v40
	v_add_u32_e32 v32, 14, v33
	v_addc_co_u32_e32 v29, vcc, 0, v41, vcc
	v_cmp_ne_u32_e32 vcc, 0, v32
                                        ; implicit-def: $vgpr31
	s_and_saveexec_b64 s[16:17], vcc
	s_xor_b64 s[16:17], exec, s[16:17]
; %bb.775:                              ;   in Loop: Header=BB4_707 Depth=2
	v_add_u32_e32 v31, 15, v33
	v_cmp_lt_u64_e32 vcc, s[42:43], v[28:29]
	v_cndmask_b32_e32 v31, v32, v31, vcc
	v_cndmask_b32_e64 v32, 0, 1, vcc
	v_lshrrev_b64 v[28:29], v32, v[28:29]
; %bb.776:                              ;   in Loop: Header=BB4_707 Depth=2
	s_andn2_saveexec_b64 s[16:17], s[16:17]
; %bb.777:                              ;   in Loop: Header=BB4_707 Depth=2
	v_bfe_u32 v31, v28, 23, 1
; %bb.778:                              ;   in Loop: Header=BB4_707 Depth=2
	s_or_b64 exec, exec, s[16:17]
	v_lshrrev_b64 v[28:29], 21, v[28:29]
	v_cmp_gt_i32_e32 vcc, 32, v31
	v_cndmask_b32_e32 v29, 0, v29, vcc
	v_cndmask_b32_e32 v28, 3, v28, vcc
	v_cmp_eq_u64_e64 s[16:17], 0, v[28:29]
	v_min_i32_e32 v29, 31, v31
	v_cmp_eq_u32_e32 vcc, 0, v31
	v_lshlrev_b32_e32 v29, 2, v29
	v_and_or_b32 v28, v28, 3, v29
	s_and_b64 s[16:17], vcc, s[16:17]
	v_cndmask_b32_e64 v28, v28, 0, s[16:17]
	v_or_b32_e32 v28, v28, v27
.LBB4_779:                              ;   in Loop: Header=BB4_707 Depth=2
	s_or_b64 exec, exec, s[50:51]
.LBB4_780:                              ;   in Loop: Header=BB4_707 Depth=2
	s_or_b64 exec, exec, s[48:49]
                                        ; implicit-def: $vgpr29
                                        ; implicit-def: $vgpr40_vgpr41
.LBB4_781:                              ;   in Loop: Header=BB4_707 Depth=2
	s_andn2_saveexec_b64 s[16:17], s[46:47]
; %bb.782:                              ;   in Loop: Header=BB4_707 Depth=2
	v_or_b32_sdwa v27, v29, s68 dst_sel:DWORD dst_unused:UNUSED_PAD src0_sel:BYTE_3 src1_sel:DWORD
	v_cmp_eq_u64_e32 vcc, 0, v[40:41]
	v_cndmask_b32_e32 v28, v27, v28, vcc
; %bb.783:                              ;   in Loop: Header=BB4_707 Depth=2
	s_or_b64 exec, exec, s[16:17]
	v_cmp_lt_u32_e32 vcc, s37, v54
	v_mov_b32_e32 v27, 0
	s_and_saveexec_b64 s[16:17], vcc
	s_cbranch_execz .LBB4_791
; %bb.784:                              ;   in Loop: Header=BB4_707 Depth=2
	v_lshrrev_b32_e32 v40, 24, v54
	v_cmp_ne_u32_e32 vcc, s66, v40
	v_bfrev_b32_e32 v27, 1
	s_and_saveexec_b64 s[46:47], vcc
	s_cbranch_execz .LBB4_790
; %bb.785:                              ;   in Loop: Header=BB4_707 Depth=2
	v_and_b32_e32 v27, 0x7c000000, v54
	v_bfe_u32 v29, v54, 24, 2
	v_cmp_ne_u32_e32 vcc, s70, v27
                                        ; implicit-def: $vgpr27
	s_and_saveexec_b64 s[48:49], vcc
	s_xor_b64 s[48:49], exec, s[48:49]
	s_cbranch_execz .LBB4_787
; %bb.786:                              ;   in Loop: Header=BB4_707 Depth=2
	v_ffbh_u32_e32 v31, v29
	v_bfe_u32 v27, v54, 26, 5
	v_min_u32_e32 v31, 32, v31
	v_subrev_u32_e32 v32, 29, v31
	v_sub_u32_e32 v31, 30, v31
	v_cmp_eq_u32_e32 vcc, 0, v27
	v_lshlrev_b64 v[32:33], v32, v[40:41]
	v_cndmask_b32_e32 v27, v27, v31, vcc
	v_and_b32_e32 v32, 3, v32
	v_lshl_add_u32 v27, v27, 23, v7
	v_cndmask_b32_e32 v29, v29, v32, vcc
	v_and_or_b32 v27, v54, s65, v27
	v_lshl_or_b32 v27, v29, 21, v27
                                        ; implicit-def: $vgpr29
.LBB4_787:                              ;   in Loop: Header=BB4_707 Depth=2
	s_andn2_saveexec_b64 s[48:49], s[48:49]
; %bb.788:                              ;   in Loop: Header=BB4_707 Depth=2
	v_cmp_lt_i32_e32 vcc, -1, v54
	v_cndmask_b32_e32 v27, v24, v25, vcc
	v_cmp_eq_u32_e32 vcc, 0, v29
	v_cndmask_b32_e32 v27, v6, v27, vcc
; %bb.789:                              ;   in Loop: Header=BB4_707 Depth=2
	s_or_b64 exec, exec, s[48:49]
.LBB4_790:                              ;   in Loop: Header=BB4_707 Depth=2
	s_or_b64 exec, exec, s[46:47]
.LBB4_791:                              ;   in Loop: Header=BB4_707 Depth=2
	s_or_b64 exec, exec, s[16:17]
	v_mul_f32_e32 v29, v62, v27
	v_and_b32_sdwa v27, v29, s66 dst_sel:DWORD dst_unused:UNUSED_PAD src0_sel:BYTE_3 src1_sel:DWORD
	v_and_b32_e32 v32, 0x7f800000, v29
	v_mov_b32_e32 v33, v55
	v_and_b32_e32 v54, 0x7fffff, v29
	v_or_b32_e32 v31, 0x7b, v27
	v_cmp_ne_u64_e32 vcc, s[38:39], v[32:33]
	s_and_saveexec_b64 s[16:17], vcc
	s_xor_b64 s[46:47], exec, s[16:17]
	s_cbranch_execz .LBB4_801
; %bb.792:                              ;   in Loop: Header=BB4_707 Depth=2
	v_and_b32_e32 v32, 0x7fffffff, v29
	v_mov_b32_e32 v33, v55
	v_cmp_gt_u64_e32 vcc, s[40:41], v[32:33]
	s_and_saveexec_b64 s[48:49], vcc
	s_cbranch_execz .LBB4_800
; %bb.793:                              ;   in Loop: Header=BB4_707 Depth=2
	v_cmp_ne_u32_e32 vcc, 0, v29
	v_mov_b32_e32 v31, 0
	s_and_saveexec_b64 s[50:51], vcc
	s_cbranch_execz .LBB4_799
; %bb.794:                              ;   in Loop: Header=BB4_707 Depth=2
	v_bfe_u32 v29, v29, 23, 8
	v_sub_u32_e32 v32, 0x71, v29
	v_cmp_gt_u32_e32 vcc, s67, v29
	v_add_u32_e32 v31, 0xffffff81, v29
	v_cndmask_b32_e32 v32, 0, v32, vcc
	v_cmp_eq_u32_e32 vcc, 0, v29
	v_cndmask_b32_e32 v29, v31, v48, vcc
	v_cndmask_b32_e32 v31, v32, v49, vcc
	v_or_b32_e32 v33, 0x800000, v54
	v_add_u32_e32 v32, 21, v31
	v_cndmask_b32_e32 v54, v33, v54, vcc
	v_lshlrev_b64 v[32:33], v32, -1
	v_not_b32_e32 v32, v32
	v_and_b32_e32 v36, v54, v32
	v_add_u32_e32 v32, 20, v31
	v_lshrrev_b64 v[60:61], v31, v[54:55]
	v_not_b32_e32 v33, v33
	v_lshlrev_b64 v[40:41], v32, 1
	v_lshrrev_b32_e32 v32, 23, v60
	v_and_b32_e32 v37, 0, v33
	v_add3_u32 v32, v31, v29, v32
	v_bfe_u32 v29, v60, 21, 1
	v_add_u32_e32 v29, -1, v29
	v_cmp_eq_u64_e32 vcc, v[36:37], v[40:41]
	v_cndmask_b32_e32 v29, 0, v29, vcc
	v_add_u32_e32 v29, v29, v60
	v_and_b32_e32 v29, 0x1fffff, v29
	v_add_co_u32_e32 v40, vcc, v29, v60
	v_add_u32_e32 v31, 14, v32
	v_addc_co_u32_e32 v41, vcc, 0, v61, vcc
	v_cmp_ne_u32_e32 vcc, 0, v31
                                        ; implicit-def: $vgpr29
	s_and_saveexec_b64 s[16:17], vcc
	s_xor_b64 s[16:17], exec, s[16:17]
; %bb.795:                              ;   in Loop: Header=BB4_707 Depth=2
	v_add_u32_e32 v29, 15, v32
	v_cmp_lt_u64_e32 vcc, s[42:43], v[40:41]
	v_cndmask_b32_e32 v29, v31, v29, vcc
	v_cndmask_b32_e64 v31, 0, 1, vcc
	v_lshrrev_b64 v[40:41], v31, v[40:41]
; %bb.796:                              ;   in Loop: Header=BB4_707 Depth=2
	s_andn2_saveexec_b64 s[16:17], s[16:17]
; %bb.797:                              ;   in Loop: Header=BB4_707 Depth=2
	v_bfe_u32 v29, v40, 23, 1
; %bb.798:                              ;   in Loop: Header=BB4_707 Depth=2
	s_or_b64 exec, exec, s[16:17]
	v_lshrrev_b64 v[32:33], 21, v[40:41]
	v_cmp_gt_i32_e32 vcc, 32, v29
	v_cndmask_b32_e32 v33, 0, v33, vcc
	v_cndmask_b32_e32 v32, 3, v32, vcc
	v_cmp_eq_u32_e32 vcc, 0, v29
	v_min_i32_e32 v29, 31, v29
	v_cmp_eq_u64_e64 s[16:17], 0, v[32:33]
	v_lshlrev_b32_e32 v29, 2, v29
	v_and_or_b32 v29, v32, 3, v29
	s_and_b64 s[16:17], vcc, s[16:17]
	v_cndmask_b32_e64 v29, v29, 0, s[16:17]
	v_or_b32_e32 v31, v29, v27
.LBB4_799:                              ;   in Loop: Header=BB4_707 Depth=2
	s_or_b64 exec, exec, s[50:51]
.LBB4_800:                              ;   in Loop: Header=BB4_707 Depth=2
	s_or_b64 exec, exec, s[48:49]
                                        ; implicit-def: $vgpr29
.LBB4_801:                              ;   in Loop: Header=BB4_707 Depth=2
	s_andn2_saveexec_b64 s[16:17], s[46:47]
; %bb.802:                              ;   in Loop: Header=BB4_707 Depth=2
	v_or_b32_sdwa v27, v29, s68 dst_sel:DWORD dst_unused:UNUSED_PAD src0_sel:BYTE_3 src1_sel:DWORD
	v_cmp_eq_u64_e32 vcc, 0, v[54:55]
	v_cndmask_b32_e32 v31, v27, v31, vcc
; %bb.803:                              ;   in Loop: Header=BB4_707 Depth=2
	s_or_b64 exec, exec, s[16:17]
	v_alignbit_b32 v54, v21, v22, v23
	v_cmp_ne_u16_sdwa vcc, v54, v55 src0_sel:BYTE_0 src1_sel:DWORD
	v_mov_b32_e32 v21, 0
	s_and_saveexec_b64 s[16:17], vcc
	s_cbranch_execz .LBB4_811
; %bb.804:                              ;   in Loop: Header=BB4_707 Depth=2
	v_cmp_ne_u16_sdwa vcc, sext(v54), s63 src0_sel:BYTE_0 src1_sel:DWORD
	v_bfrev_b32_e32 v21, 1
	s_and_saveexec_b64 s[46:47], vcc
	s_cbranch_execz .LBB4_810
; %bb.805:                              ;   in Loop: Header=BB4_707 Depth=2
	v_and_b32_e32 v21, 0x7c, v54
	v_and_b32_e32 v22, 3, v54
	v_cmp_ne_u32_e32 vcc, s64, v21
                                        ; implicit-def: $vgpr21
	s_and_saveexec_b64 s[48:49], vcc
	s_xor_b64 s[48:49], exec, s[48:49]
	s_cbranch_execz .LBB4_807
; %bb.806:                              ;   in Loop: Header=BB4_707 Depth=2
	v_ffbh_u32_e32 v23, v22
	v_bfe_u32 v21, v54, 2, 5
	v_min_u32_e32 v23, 32, v23
	v_subrev_u32_e32 v27, 29, v23
	v_sub_u32_e32 v23, 30, v23
	v_cmp_eq_u32_e32 vcc, 0, v21
	v_lshlrev_b64 v[32:33], v27, v[54:55]
	v_cndmask_b32_e32 v21, v21, v23, vcc
	v_and_b32_e32 v27, 3, v32
	v_lshlrev_b32_e32 v23, 24, v54
	v_lshl_add_u32 v21, v21, 23, v7
	v_cndmask_b32_e32 v22, v22, v27, vcc
	v_and_or_b32 v21, v23, s65, v21
	v_lshl_or_b32 v21, v22, 21, v21
                                        ; implicit-def: $vgpr22
.LBB4_807:                              ;   in Loop: Header=BB4_707 Depth=2
	s_andn2_saveexec_b64 s[48:49], s[48:49]
; %bb.808:                              ;   in Loop: Header=BB4_707 Depth=2
	v_cmp_gt_i16_sdwa vcc, sext(v54), v47 src0_sel:BYTE_0 src1_sel:DWORD
	v_cndmask_b32_e32 v21, v24, v25, vcc
	v_cmp_eq_u32_e32 vcc, 0, v22
	v_cndmask_b32_e32 v21, v6, v21, vcc
; %bb.809:                              ;   in Loop: Header=BB4_707 Depth=2
	s_or_b64 exec, exec, s[48:49]
.LBB4_810:                              ;   in Loop: Header=BB4_707 Depth=2
	s_or_b64 exec, exec, s[46:47]
.LBB4_811:                              ;   in Loop: Header=BB4_707 Depth=2
	s_or_b64 exec, exec, s[16:17]
	v_mul_f32_e32 v22, v62, v21
	v_and_b32_sdwa v21, v22, s66 dst_sel:DWORD dst_unused:UNUSED_PAD src0_sel:BYTE_3 src1_sel:DWORD
	v_and_b32_e32 v32, 0x7f800000, v22
	v_mov_b32_e32 v33, v55
	v_and_b32_e32 v40, 0x7fffff, v22
	v_mov_b32_e32 v41, v55
	v_or_b32_e32 v29, 0x7b, v21
	v_cmp_ne_u64_e32 vcc, s[38:39], v[32:33]
	s_and_saveexec_b64 s[16:17], vcc
	s_xor_b64 s[46:47], exec, s[16:17]
	s_cbranch_execz .LBB4_821
; %bb.812:                              ;   in Loop: Header=BB4_707 Depth=2
	v_and_b32_e32 v32, 0x7fffffff, v22
	v_mov_b32_e32 v33, v55
	v_cmp_gt_u64_e32 vcc, s[40:41], v[32:33]
	s_and_saveexec_b64 s[48:49], vcc
	s_cbranch_execz .LBB4_820
; %bb.813:                              ;   in Loop: Header=BB4_707 Depth=2
	v_cmp_ne_u32_e32 vcc, 0, v22
	v_mov_b32_e32 v29, 0
	s_and_saveexec_b64 s[50:51], vcc
	s_cbranch_execz .LBB4_819
; %bb.814:                              ;   in Loop: Header=BB4_707 Depth=2
	v_bfe_u32 v22, v22, 23, 8
	v_sub_u32_e32 v27, 0x71, v22
	v_cmp_gt_u32_e32 vcc, s67, v22
	v_cndmask_b32_e32 v27, 0, v27, vcc
	v_cmp_eq_u32_e32 vcc, 0, v22
	v_cndmask_b32_e32 v27, v27, v49, vcc
	v_add_u32_e32 v23, 0xffffff81, v22
	v_add_u32_e32 v22, 21, v27
	v_or_b32_e32 v29, 0x800000, v40
	v_cndmask_b32_e32 v38, v23, v48, vcc
	v_lshlrev_b64 v[22:23], v22, -1
	v_cndmask_b32_e32 v40, v29, v40, vcc
	v_not_b32_e32 v22, v22
	v_and_b32_e32 v32, v40, v22
	v_add_u32_e32 v22, 20, v27
	v_lshrrev_b64 v[40:41], v27, v[40:41]
	v_not_b32_e32 v23, v23
	v_lshlrev_b64 v[36:37], v22, 1
	v_lshrrev_b32_e32 v22, 23, v40
	v_and_b32_e32 v33, 0, v23
	v_add3_u32 v27, v27, v38, v22
	v_bfe_u32 v22, v40, 21, 1
	v_add_u32_e32 v22, -1, v22
	v_cmp_eq_u64_e32 vcc, v[32:33], v[36:37]
	v_cndmask_b32_e32 v22, 0, v22, vcc
	v_add_u32_e32 v22, v22, v40
	v_and_b32_e32 v22, 0x1fffff, v22
	v_add_co_u32_e32 v40, vcc, v22, v40
	v_add_u32_e32 v23, 14, v27
	v_addc_co_u32_e32 v41, vcc, 0, v41, vcc
	v_cmp_ne_u32_e32 vcc, 0, v23
                                        ; implicit-def: $vgpr22
	s_and_saveexec_b64 s[16:17], vcc
	s_xor_b64 s[16:17], exec, s[16:17]
; %bb.815:                              ;   in Loop: Header=BB4_707 Depth=2
	v_add_u32_e32 v22, 15, v27
	v_cmp_lt_u64_e32 vcc, s[42:43], v[40:41]
	v_cndmask_b32_e32 v22, v23, v22, vcc
	v_cndmask_b32_e64 v23, 0, 1, vcc
	v_lshrrev_b64 v[40:41], v23, v[40:41]
; %bb.816:                              ;   in Loop: Header=BB4_707 Depth=2
	s_andn2_saveexec_b64 s[16:17], s[16:17]
; %bb.817:                              ;   in Loop: Header=BB4_707 Depth=2
	v_bfe_u32 v22, v40, 23, 1
; %bb.818:                              ;   in Loop: Header=BB4_707 Depth=2
	s_or_b64 exec, exec, s[16:17]
	v_lshrrev_b64 v[32:33], 21, v[40:41]
	v_cmp_gt_i32_e32 vcc, 32, v22
	v_cndmask_b32_e32 v33, 0, v33, vcc
	v_cndmask_b32_e32 v32, 3, v32, vcc
	v_cmp_eq_u32_e32 vcc, 0, v22
	v_min_i32_e32 v22, 31, v22
	v_cmp_eq_u64_e64 s[16:17], 0, v[32:33]
	v_lshlrev_b32_e32 v22, 2, v22
	v_and_or_b32 v22, v32, 3, v22
	s_and_b64 s[16:17], vcc, s[16:17]
	v_cndmask_b32_e64 v22, v22, 0, s[16:17]
	v_or_b32_e32 v29, v22, v21
.LBB4_819:                              ;   in Loop: Header=BB4_707 Depth=2
	s_or_b64 exec, exec, s[50:51]
.LBB4_820:                              ;   in Loop: Header=BB4_707 Depth=2
	s_or_b64 exec, exec, s[48:49]
                                        ; implicit-def: $vgpr22
                                        ; implicit-def: $vgpr40_vgpr41
.LBB4_821:                              ;   in Loop: Header=BB4_707 Depth=2
	s_andn2_saveexec_b64 s[16:17], s[46:47]
; %bb.822:                              ;   in Loop: Header=BB4_707 Depth=2
	v_or_b32_sdwa v21, v22, s68 dst_sel:DWORD dst_unused:UNUSED_PAD src0_sel:BYTE_3 src1_sel:DWORD
	v_cmp_eq_u64_e32 vcc, 0, v[40:41]
	v_cndmask_b32_e32 v29, v21, v29, vcc
; %bb.823:                              ;   in Loop: Header=BB4_707 Depth=2
	s_or_b64 exec, exec, s[16:17]
	v_lshrrev_b16_e32 v40, 8, v54
	v_cmp_ne_u16_e32 vcc, 0, v40
	v_mov_b32_e32 v21, 0
	s_and_saveexec_b64 s[16:17], vcc
	s_cbranch_execz .LBB4_831
; %bb.824:                              ;   in Loop: Header=BB4_707 Depth=2
	v_cmp_ne_u16_e32 vcc, s66, v40
	v_bfrev_b32_e32 v21, 1
	s_and_saveexec_b64 s[46:47], vcc
	s_cbranch_execz .LBB4_830
; %bb.825:                              ;   in Loop: Header=BB4_707 Depth=2
	v_and_b32_e32 v21, 0x7c, v40
	v_and_b32_e32 v22, 3, v40
	v_cmp_ne_u32_e32 vcc, s64, v21
                                        ; implicit-def: $vgpr21
	s_and_saveexec_b64 s[48:49], vcc
	s_xor_b64 s[48:49], exec, s[48:49]
	s_cbranch_execz .LBB4_827
; %bb.826:                              ;   in Loop: Header=BB4_707 Depth=2
	v_ffbh_u32_e32 v23, v22
	v_bfe_u32 v21, v40, 2, 5
	v_min_u32_e32 v23, 32, v23
	v_mov_b32_e32 v41, v55
	v_subrev_u32_e32 v27, 29, v23
	v_sub_u32_e32 v23, 30, v23
	v_cmp_eq_u32_e32 vcc, 0, v21
	v_lshlrev_b64 v[32:33], v27, v[40:41]
	v_cndmask_b32_e32 v21, v21, v23, vcc
	v_and_b32_e32 v27, 3, v32
	v_lshlrev_b32_e32 v23, 16, v54
	v_lshl_add_u32 v21, v21, 23, v7
	v_cndmask_b32_e32 v22, v22, v27, vcc
	v_and_or_b32 v21, v23, s65, v21
	v_lshl_or_b32 v21, v22, 21, v21
                                        ; implicit-def: $vgpr22
.LBB4_827:                              ;   in Loop: Header=BB4_707 Depth=2
	s_andn2_saveexec_b64 s[48:49], s[48:49]
; %bb.828:                              ;   in Loop: Header=BB4_707 Depth=2
	v_cmp_lt_i16_e32 vcc, -1, v54
	v_cndmask_b32_e32 v21, v24, v25, vcc
	v_cmp_eq_u32_e32 vcc, 0, v22
	v_cndmask_b32_e32 v21, v6, v21, vcc
; %bb.829:                              ;   in Loop: Header=BB4_707 Depth=2
	s_or_b64 exec, exec, s[48:49]
.LBB4_830:                              ;   in Loop: Header=BB4_707 Depth=2
	s_or_b64 exec, exec, s[46:47]
.LBB4_831:                              ;   in Loop: Header=BB4_707 Depth=2
	s_or_b64 exec, exec, s[16:17]
	v_mul_f32_e32 v22, v62, v21
	v_and_b32_sdwa v21, v22, s66 dst_sel:DWORD dst_unused:UNUSED_PAD src0_sel:BYTE_3 src1_sel:DWORD
	v_and_b32_e32 v36, 0x7f800000, v22
	v_mov_b32_e32 v37, v55
	v_and_b32_e32 v40, 0x7fffff, v22
	v_mov_b32_e32 v41, v55
	v_or_b32_e32 v33, 0x7b, v21
	v_cmp_ne_u64_e32 vcc, s[38:39], v[36:37]
	s_and_saveexec_b64 s[16:17], vcc
	s_xor_b64 s[46:47], exec, s[16:17]
	s_cbranch_execz .LBB4_841
; %bb.832:                              ;   in Loop: Header=BB4_707 Depth=2
	v_and_b32_e32 v36, 0x7fffffff, v22
	v_mov_b32_e32 v37, v55
	v_cmp_gt_u64_e32 vcc, s[40:41], v[36:37]
	s_and_saveexec_b64 s[48:49], vcc
	s_cbranch_execz .LBB4_840
; %bb.833:                              ;   in Loop: Header=BB4_707 Depth=2
	v_cmp_ne_u32_e32 vcc, 0, v22
	v_mov_b32_e32 v33, 0
	s_and_saveexec_b64 s[50:51], vcc
	s_cbranch_execz .LBB4_839
; %bb.834:                              ;   in Loop: Header=BB4_707 Depth=2
	v_bfe_u32 v22, v22, 23, 8
	v_sub_u32_e32 v27, 0x71, v22
	v_cmp_gt_u32_e32 vcc, s67, v22
	v_cndmask_b32_e32 v27, 0, v27, vcc
	v_cmp_eq_u32_e32 vcc, 0, v22
	v_cndmask_b32_e32 v27, v27, v49, vcc
	v_add_u32_e32 v23, 0xffffff81, v22
	v_add_u32_e32 v22, 21, v27
	v_or_b32_e32 v32, 0x800000, v40
	v_cndmask_b32_e32 v38, v23, v48, vcc
	v_lshlrev_b64 v[22:23], v22, -1
	v_cndmask_b32_e32 v40, v32, v40, vcc
	v_not_b32_e32 v22, v22
	v_and_b32_e32 v32, v40, v22
	v_add_u32_e32 v22, 20, v27
	v_lshrrev_b64 v[40:41], v27, v[40:41]
	v_not_b32_e32 v23, v23
	v_lshlrev_b64 v[36:37], v22, 1
	v_lshrrev_b32_e32 v22, 23, v40
	v_and_b32_e32 v33, 0, v23
	v_add3_u32 v27, v27, v38, v22
	v_bfe_u32 v22, v40, 21, 1
	v_add_u32_e32 v22, -1, v22
	v_cmp_eq_u64_e32 vcc, v[32:33], v[36:37]
	v_cndmask_b32_e32 v22, 0, v22, vcc
	v_add_u32_e32 v22, v22, v40
	v_and_b32_e32 v22, 0x1fffff, v22
	v_add_co_u32_e32 v40, vcc, v22, v40
	v_add_u32_e32 v23, 14, v27
	v_addc_co_u32_e32 v41, vcc, 0, v41, vcc
	v_cmp_ne_u32_e32 vcc, 0, v23
                                        ; implicit-def: $vgpr22
	s_and_saveexec_b64 s[16:17], vcc
	s_xor_b64 s[16:17], exec, s[16:17]
; %bb.835:                              ;   in Loop: Header=BB4_707 Depth=2
	v_add_u32_e32 v22, 15, v27
	v_cmp_lt_u64_e32 vcc, s[42:43], v[40:41]
	v_cndmask_b32_e32 v22, v23, v22, vcc
	v_cndmask_b32_e64 v23, 0, 1, vcc
	v_lshrrev_b64 v[40:41], v23, v[40:41]
; %bb.836:                              ;   in Loop: Header=BB4_707 Depth=2
	s_andn2_saveexec_b64 s[16:17], s[16:17]
; %bb.837:                              ;   in Loop: Header=BB4_707 Depth=2
	v_bfe_u32 v22, v40, 23, 1
; %bb.838:                              ;   in Loop: Header=BB4_707 Depth=2
	s_or_b64 exec, exec, s[16:17]
	v_lshrrev_b64 v[32:33], 21, v[40:41]
	v_cmp_gt_i32_e32 vcc, 32, v22
	v_cndmask_b32_e32 v33, 0, v33, vcc
	v_cndmask_b32_e32 v32, 3, v32, vcc
	v_cmp_eq_u32_e32 vcc, 0, v22
	v_min_i32_e32 v22, 31, v22
	v_cmp_eq_u64_e64 s[16:17], 0, v[32:33]
	v_lshlrev_b32_e32 v22, 2, v22
	v_and_or_b32 v22, v32, 3, v22
	s_and_b64 s[16:17], vcc, s[16:17]
	v_cndmask_b32_e64 v22, v22, 0, s[16:17]
	v_or_b32_e32 v33, v22, v21
.LBB4_839:                              ;   in Loop: Header=BB4_707 Depth=2
	s_or_b64 exec, exec, s[50:51]
.LBB4_840:                              ;   in Loop: Header=BB4_707 Depth=2
	s_or_b64 exec, exec, s[48:49]
                                        ; implicit-def: $vgpr22
                                        ; implicit-def: $vgpr40_vgpr41
.LBB4_841:                              ;   in Loop: Header=BB4_707 Depth=2
	s_andn2_saveexec_b64 s[16:17], s[46:47]
; %bb.842:                              ;   in Loop: Header=BB4_707 Depth=2
	v_or_b32_sdwa v21, v22, s68 dst_sel:DWORD dst_unused:UNUSED_PAD src0_sel:BYTE_3 src1_sel:DWORD
	v_cmp_eq_u64_e32 vcc, 0, v[40:41]
	v_cndmask_b32_e32 v33, v21, v33, vcc
; %bb.843:                              ;   in Loop: Header=BB4_707 Depth=2
	s_or_b64 exec, exec, s[16:17]
	v_and_b32_sdwa v22, v54, s62 dst_sel:DWORD dst_unused:UNUSED_PAD src0_sel:WORD_1 src1_sel:DWORD
	v_lshrrev_b32_e32 v40, 16, v54
	v_cmp_ne_u16_e32 vcc, 0, v22
	v_mov_b32_e32 v21, 0
	s_and_saveexec_b64 s[16:17], vcc
	s_cbranch_execz .LBB4_851
; %bb.844:                              ;   in Loop: Header=BB4_707 Depth=2
	v_cmp_ne_u16_e32 vcc, s66, v22
	v_bfrev_b32_e32 v21, 1
	s_and_saveexec_b64 s[46:47], vcc
	s_cbranch_execz .LBB4_850
; %bb.845:                              ;   in Loop: Header=BB4_707 Depth=2
	v_and_b32_e32 v21, 0x7c0000, v54
	v_bfe_u32 v22, v54, 16, 2
	v_cmp_ne_u32_e32 vcc, s69, v21
                                        ; implicit-def: $vgpr21
	s_and_saveexec_b64 s[48:49], vcc
	s_xor_b64 s[48:49], exec, s[48:49]
	s_cbranch_execz .LBB4_847
; %bb.846:                              ;   in Loop: Header=BB4_707 Depth=2
	v_ffbh_u32_e32 v23, v22
	v_bfe_u32 v21, v54, 18, 5
	v_min_u32_e32 v23, 32, v23
	v_subrev_u32_e32 v27, 29, v23
	v_sub_u32_e32 v23, 30, v23
	v_cmp_eq_u32_e32 vcc, 0, v21
	v_lshlrev_b64 v[36:37], v27, v[40:41]
	v_cndmask_b32_e32 v21, v21, v23, vcc
	v_and_b32_e32 v27, 3, v36
	v_lshlrev_b32_e32 v23, 8, v54
	v_lshl_add_u32 v21, v21, 23, v7
	v_cndmask_b32_e32 v22, v22, v27, vcc
	v_and_or_b32 v21, v23, s65, v21
	v_lshl_or_b32 v21, v22, 21, v21
                                        ; implicit-def: $vgpr22
                                        ; implicit-def: $vgpr40
.LBB4_847:                              ;   in Loop: Header=BB4_707 Depth=2
	s_andn2_saveexec_b64 s[48:49], s[48:49]
; %bb.848:                              ;   in Loop: Header=BB4_707 Depth=2
	v_cmp_gt_i16_sdwa vcc, sext(v40), v47 src0_sel:BYTE_0 src1_sel:DWORD
	v_cndmask_b32_e32 v21, v24, v25, vcc
	v_cmp_eq_u32_e32 vcc, 0, v22
	v_cndmask_b32_e32 v21, v6, v21, vcc
; %bb.849:                              ;   in Loop: Header=BB4_707 Depth=2
	s_or_b64 exec, exec, s[48:49]
.LBB4_850:                              ;   in Loop: Header=BB4_707 Depth=2
	s_or_b64 exec, exec, s[46:47]
.LBB4_851:                              ;   in Loop: Header=BB4_707 Depth=2
	s_or_b64 exec, exec, s[16:17]
	v_mul_f32_e32 v22, v62, v21
	v_and_b32_sdwa v21, v22, s66 dst_sel:DWORD dst_unused:UNUSED_PAD src0_sel:BYTE_3 src1_sel:DWORD
	v_and_b32_e32 v36, 0x7f800000, v22
	v_mov_b32_e32 v37, v55
	v_and_b32_e32 v40, 0x7fffff, v22
	v_mov_b32_e32 v41, v55
	v_or_b32_e32 v27, 0x7b, v21
	v_cmp_ne_u64_e32 vcc, s[38:39], v[36:37]
	s_and_saveexec_b64 s[16:17], vcc
	s_xor_b64 s[46:47], exec, s[16:17]
	s_cbranch_execz .LBB4_861
; %bb.852:                              ;   in Loop: Header=BB4_707 Depth=2
	v_and_b32_e32 v36, 0x7fffffff, v22
	v_mov_b32_e32 v37, v55
	v_cmp_gt_u64_e32 vcc, s[40:41], v[36:37]
	s_and_saveexec_b64 s[48:49], vcc
	s_cbranch_execz .LBB4_860
; %bb.853:                              ;   in Loop: Header=BB4_707 Depth=2
	v_cmp_ne_u32_e32 vcc, 0, v22
	v_mov_b32_e32 v27, 0
	s_and_saveexec_b64 s[50:51], vcc
	s_cbranch_execz .LBB4_859
; %bb.854:                              ;   in Loop: Header=BB4_707 Depth=2
	v_bfe_u32 v22, v22, 23, 8
	v_sub_u32_e32 v27, 0x71, v22
	v_cmp_gt_u32_e32 vcc, s67, v22
	v_cndmask_b32_e32 v27, 0, v27, vcc
	v_cmp_eq_u32_e32 vcc, 0, v22
	v_cndmask_b32_e32 v27, v27, v49, vcc
	v_add_u32_e32 v23, 0xffffff81, v22
	v_add_u32_e32 v22, 21, v27
	v_or_b32_e32 v32, 0x800000, v40
	v_cndmask_b32_e32 v38, v23, v48, vcc
	v_lshlrev_b64 v[22:23], v22, -1
	v_cndmask_b32_e32 v40, v32, v40, vcc
	v_not_b32_e32 v22, v22
	v_and_b32_e32 v36, v40, v22
	v_add_u32_e32 v22, 20, v27
	v_lshrrev_b64 v[40:41], v27, v[40:41]
	v_not_b32_e32 v23, v23
	v_lshlrev_b64 v[60:61], v22, 1
	v_lshrrev_b32_e32 v22, 23, v40
	v_and_b32_e32 v37, 0, v23
	v_add3_u32 v27, v27, v38, v22
	v_bfe_u32 v22, v40, 21, 1
	v_add_u32_e32 v22, -1, v22
	v_cmp_eq_u64_e32 vcc, v[36:37], v[60:61]
	v_cndmask_b32_e32 v22, 0, v22, vcc
	v_add_u32_e32 v22, v22, v40
	v_and_b32_e32 v22, 0x1fffff, v22
	v_add_co_u32_e32 v40, vcc, v22, v40
	v_add_u32_e32 v23, 14, v27
	v_addc_co_u32_e32 v41, vcc, 0, v41, vcc
	v_cmp_ne_u32_e32 vcc, 0, v23
                                        ; implicit-def: $vgpr22
	s_and_saveexec_b64 s[16:17], vcc
	s_xor_b64 s[16:17], exec, s[16:17]
; %bb.855:                              ;   in Loop: Header=BB4_707 Depth=2
	v_add_u32_e32 v22, 15, v27
	v_cmp_lt_u64_e32 vcc, s[42:43], v[40:41]
	v_cndmask_b32_e32 v22, v23, v22, vcc
	v_cndmask_b32_e64 v23, 0, 1, vcc
	v_lshrrev_b64 v[40:41], v23, v[40:41]
; %bb.856:                              ;   in Loop: Header=BB4_707 Depth=2
	s_andn2_saveexec_b64 s[16:17], s[16:17]
; %bb.857:                              ;   in Loop: Header=BB4_707 Depth=2
	v_bfe_u32 v22, v40, 23, 1
; %bb.858:                              ;   in Loop: Header=BB4_707 Depth=2
	s_or_b64 exec, exec, s[16:17]
	v_lshrrev_b64 v[36:37], 21, v[40:41]
	v_cmp_gt_i32_e32 vcc, 32, v22
	v_cndmask_b32_e32 v37, 0, v37, vcc
	v_cndmask_b32_e32 v36, 3, v36, vcc
	v_cmp_eq_u32_e32 vcc, 0, v22
	v_min_i32_e32 v22, 31, v22
	v_lshlrev_b32_e32 v22, 2, v22
	v_cmp_eq_u64_e64 s[16:17], 0, v[36:37]
	v_and_b32_e32 v22, 0xfc, v22
	v_and_or_b32 v22, v36, 3, v22
	s_and_b64 s[16:17], vcc, s[16:17]
	v_cndmask_b32_e64 v22, v22, 0, s[16:17]
	v_or_b32_e32 v27, v22, v21
.LBB4_859:                              ;   in Loop: Header=BB4_707 Depth=2
	s_or_b64 exec, exec, s[50:51]
.LBB4_860:                              ;   in Loop: Header=BB4_707 Depth=2
	s_or_b64 exec, exec, s[48:49]
                                        ; implicit-def: $vgpr22
                                        ; implicit-def: $vgpr40_vgpr41
.LBB4_861:                              ;   in Loop: Header=BB4_707 Depth=2
	s_andn2_saveexec_b64 s[16:17], s[46:47]
; %bb.862:                              ;   in Loop: Header=BB4_707 Depth=2
	v_or_b32_sdwa v21, v22, s68 dst_sel:DWORD dst_unused:UNUSED_PAD src0_sel:BYTE_3 src1_sel:DWORD
	v_cmp_eq_u64_e32 vcc, 0, v[40:41]
	v_cndmask_b32_e32 v27, v21, v27, vcc
; %bb.863:                              ;   in Loop: Header=BB4_707 Depth=2
	s_or_b64 exec, exec, s[16:17]
	v_cmp_lt_u32_e32 vcc, s37, v54
	v_mov_b32_e32 v21, 0
	s_and_saveexec_b64 s[16:17], vcc
	s_cbranch_execz .LBB4_871
; %bb.864:                              ;   in Loop: Header=BB4_707 Depth=2
	v_lshrrev_b32_e32 v40, 24, v54
	v_cmp_ne_u32_e32 vcc, s66, v40
	v_bfrev_b32_e32 v21, 1
	s_and_saveexec_b64 s[46:47], vcc
	s_cbranch_execz .LBB4_870
; %bb.865:                              ;   in Loop: Header=BB4_707 Depth=2
	v_and_b32_e32 v21, 0x7c000000, v54
	v_bfe_u32 v22, v54, 24, 2
	v_cmp_ne_u32_e32 vcc, s70, v21
                                        ; implicit-def: $vgpr21
	s_and_saveexec_b64 s[48:49], vcc
	s_xor_b64 s[48:49], exec, s[48:49]
	s_cbranch_execz .LBB4_867
; %bb.866:                              ;   in Loop: Header=BB4_707 Depth=2
	v_ffbh_u32_e32 v23, v22
	v_bfe_u32 v21, v54, 26, 5
	v_min_u32_e32 v23, 32, v23
	v_subrev_u32_e32 v32, 29, v23
	v_sub_u32_e32 v23, 30, v23
	v_cmp_eq_u32_e32 vcc, 0, v21
	v_lshlrev_b64 v[36:37], v32, v[40:41]
	v_cndmask_b32_e32 v21, v21, v23, vcc
	v_and_b32_e32 v32, 3, v36
	v_lshl_add_u32 v21, v21, 23, v7
	v_cndmask_b32_e32 v22, v22, v32, vcc
	v_and_or_b32 v21, v54, s65, v21
	v_lshl_or_b32 v21, v22, 21, v21
                                        ; implicit-def: $vgpr22
.LBB4_867:                              ;   in Loop: Header=BB4_707 Depth=2
	s_andn2_saveexec_b64 s[48:49], s[48:49]
; %bb.868:                              ;   in Loop: Header=BB4_707 Depth=2
	v_cmp_lt_i32_e32 vcc, -1, v54
	v_cndmask_b32_e32 v21, v24, v25, vcc
	v_cmp_eq_u32_e32 vcc, 0, v22
	v_cndmask_b32_e32 v21, v6, v21, vcc
; %bb.869:                              ;   in Loop: Header=BB4_707 Depth=2
	s_or_b64 exec, exec, s[48:49]
.LBB4_870:                              ;   in Loop: Header=BB4_707 Depth=2
	s_or_b64 exec, exec, s[46:47]
.LBB4_871:                              ;   in Loop: Header=BB4_707 Depth=2
	s_or_b64 exec, exec, s[16:17]
	v_mul_f32_e32 v22, v62, v21
	v_and_b32_sdwa v21, v22, s66 dst_sel:DWORD dst_unused:UNUSED_PAD src0_sel:BYTE_3 src1_sel:DWORD
	v_and_b32_e32 v36, 0x7f800000, v22
	v_mov_b32_e32 v37, v55
	v_and_b32_e32 v54, 0x7fffff, v22
	v_or_b32_e32 v23, 0x7b, v21
	v_cmp_ne_u64_e32 vcc, s[38:39], v[36:37]
	s_and_saveexec_b64 s[16:17], vcc
	s_xor_b64 s[46:47], exec, s[16:17]
	s_cbranch_execz .LBB4_881
; %bb.872:                              ;   in Loop: Header=BB4_707 Depth=2
	v_and_b32_e32 v36, 0x7fffffff, v22
	v_mov_b32_e32 v37, v55
	v_cmp_gt_u64_e32 vcc, s[40:41], v[36:37]
	s_and_saveexec_b64 s[48:49], vcc
	s_cbranch_execz .LBB4_880
; %bb.873:                              ;   in Loop: Header=BB4_707 Depth=2
	v_cmp_ne_u32_e32 vcc, 0, v22
	v_mov_b32_e32 v23, 0
	s_and_saveexec_b64 s[50:51], vcc
	s_cbranch_execz .LBB4_879
; %bb.874:                              ;   in Loop: Header=BB4_707 Depth=2
	v_bfe_u32 v22, v22, 23, 8
	v_sub_u32_e32 v32, 0x71, v22
	v_cmp_gt_u32_e32 vcc, s67, v22
	v_cndmask_b32_e32 v32, 0, v32, vcc
	v_cmp_eq_u32_e32 vcc, 0, v22
	v_cndmask_b32_e32 v32, v32, v49, vcc
	v_add_u32_e32 v23, 0xffffff81, v22
	v_add_u32_e32 v22, 21, v32
	v_or_b32_e32 v36, 0x800000, v54
	v_cndmask_b32_e32 v38, v23, v48, vcc
	v_lshlrev_b64 v[22:23], v22, -1
	v_cndmask_b32_e32 v54, v36, v54, vcc
	v_not_b32_e32 v22, v22
	v_and_b32_e32 v36, v54, v22
	v_add_u32_e32 v22, 20, v32
	v_lshrrev_b64 v[60:61], v32, v[54:55]
	v_not_b32_e32 v23, v23
	v_lshlrev_b64 v[40:41], v22, 1
	v_lshrrev_b32_e32 v22, 23, v60
	v_and_b32_e32 v37, 0, v23
	v_add3_u32 v32, v32, v38, v22
	v_bfe_u32 v22, v60, 21, 1
	v_add_u32_e32 v22, -1, v22
	v_cmp_eq_u64_e32 vcc, v[36:37], v[40:41]
	v_cndmask_b32_e32 v22, 0, v22, vcc
	v_add_u32_e32 v22, v22, v60
	v_and_b32_e32 v22, 0x1fffff, v22
	v_add_co_u32_e32 v40, vcc, v22, v60
	v_add_u32_e32 v23, 14, v32
	v_addc_co_u32_e32 v41, vcc, 0, v61, vcc
	v_cmp_ne_u32_e32 vcc, 0, v23
                                        ; implicit-def: $vgpr22
	s_and_saveexec_b64 s[16:17], vcc
	s_xor_b64 s[16:17], exec, s[16:17]
; %bb.875:                              ;   in Loop: Header=BB4_707 Depth=2
	v_add_u32_e32 v22, 15, v32
	v_cmp_lt_u64_e32 vcc, s[42:43], v[40:41]
	v_cndmask_b32_e32 v22, v23, v22, vcc
	v_cndmask_b32_e64 v23, 0, 1, vcc
	v_lshrrev_b64 v[40:41], v23, v[40:41]
; %bb.876:                              ;   in Loop: Header=BB4_707 Depth=2
	s_andn2_saveexec_b64 s[16:17], s[16:17]
; %bb.877:                              ;   in Loop: Header=BB4_707 Depth=2
	v_bfe_u32 v22, v40, 23, 1
; %bb.878:                              ;   in Loop: Header=BB4_707 Depth=2
	s_or_b64 exec, exec, s[16:17]
	v_lshrrev_b64 v[36:37], 21, v[40:41]
	v_cmp_gt_i32_e32 vcc, 32, v22
	v_cndmask_b32_e32 v37, 0, v37, vcc
	v_cndmask_b32_e32 v36, 3, v36, vcc
	v_cmp_eq_u32_e32 vcc, 0, v22
	v_min_i32_e32 v22, 31, v22
	v_lshlrev_b32_e32 v22, 2, v22
	v_cmp_eq_u64_e64 s[16:17], 0, v[36:37]
	v_and_b32_e32 v22, 0xfc, v22
	v_and_or_b32 v22, v36, 3, v22
	s_and_b64 s[16:17], vcc, s[16:17]
	v_cndmask_b32_e64 v22, v22, 0, s[16:17]
	v_or_b32_e32 v23, v22, v21
.LBB4_879:                              ;   in Loop: Header=BB4_707 Depth=2
	s_or_b64 exec, exec, s[50:51]
.LBB4_880:                              ;   in Loop: Header=BB4_707 Depth=2
	s_or_b64 exec, exec, s[48:49]
                                        ; implicit-def: $vgpr22
.LBB4_881:                              ;   in Loop: Header=BB4_707 Depth=2
	s_andn2_saveexec_b64 s[16:17], s[46:47]
; %bb.882:                              ;   in Loop: Header=BB4_707 Depth=2
	v_or_b32_sdwa v21, v22, s68 dst_sel:DWORD dst_unused:UNUSED_PAD src0_sel:BYTE_3 src1_sel:DWORD
	v_cmp_eq_u64_e32 vcc, 0, v[54:55]
	v_cndmask_b32_e32 v23, v21, v23, vcc
; %bb.883:                              ;   in Loop: Header=BB4_707 Depth=2
	s_or_b64 exec, exec, s[16:17]
	s_waitcnt vmcnt(0)
	v_cmp_ne_u16_sdwa vcc, v2, v55 src0_sel:BYTE_0 src1_sel:DWORD
	v_mov_b32_e32 v22, 0
	v_mov_b32_e32 v21, 0
	s_and_saveexec_b64 s[16:17], vcc
	s_cbranch_execz .LBB4_891
; %bb.884:                              ;   in Loop: Header=BB4_707 Depth=2
	v_cmp_ne_u16_sdwa vcc, sext(v2), s63 src0_sel:BYTE_0 src1_sel:DWORD
	v_bfrev_b32_e32 v21, 1
	s_and_saveexec_b64 s[46:47], vcc
	s_cbranch_execz .LBB4_890
; %bb.885:                              ;   in Loop: Header=BB4_707 Depth=2
	v_and_b32_e32 v21, 0x7c, v2
	v_and_b32_e32 v32, 3, v2
	v_cmp_ne_u32_e32 vcc, s64, v21
                                        ; implicit-def: $vgpr21
	s_and_saveexec_b64 s[48:49], vcc
	s_xor_b64 s[48:49], exec, s[48:49]
	s_cbranch_execz .LBB4_887
; %bb.886:                              ;   in Loop: Header=BB4_707 Depth=2
	v_ffbh_u32_e32 v36, v32
	v_min_u32_e32 v38, 32, v36
	v_bfe_u32 v21, v2, 2, 5
	v_subrev_u32_e32 v36, 29, v38
	v_lshlrev_b64 v[36:37], v36, v[2:3]
	v_sub_u32_e32 v3, 30, v38
	v_cmp_eq_u32_e32 vcc, 0, v21
	v_and_b32_e32 v36, 3, v36
	v_cndmask_b32_e32 v3, v21, v3, vcc
	v_cndmask_b32_e32 v21, v32, v36, vcc
	v_lshlrev_b32_e32 v32, 24, v2
	v_lshl_add_u32 v3, v3, 23, v7
	v_and_or_b32 v3, v32, s65, v3
	v_lshl_or_b32 v21, v21, 21, v3
                                        ; implicit-def: $vgpr32
.LBB4_887:                              ;   in Loop: Header=BB4_707 Depth=2
	s_andn2_saveexec_b64 s[48:49], s[48:49]
; %bb.888:                              ;   in Loop: Header=BB4_707 Depth=2
	v_cmp_gt_i16_sdwa vcc, sext(v2), v47 src0_sel:BYTE_0 src1_sel:DWORD
	v_cndmask_b32_e32 v3, v24, v25, vcc
	v_cmp_eq_u32_e32 vcc, 0, v32
	v_cndmask_b32_e32 v21, v6, v3, vcc
; %bb.889:                              ;   in Loop: Header=BB4_707 Depth=2
	s_or_b64 exec, exec, s[48:49]
.LBB4_890:                              ;   in Loop: Header=BB4_707 Depth=2
	s_or_b64 exec, exec, s[46:47]
.LBB4_891:                              ;   in Loop: Header=BB4_707 Depth=2
	s_or_b64 exec, exec, s[16:17]
	v_cmp_ne_u16_sdwa vcc, v10, v55 src0_sel:BYTE_0 src1_sel:DWORD
	s_and_saveexec_b64 s[16:17], vcc
	s_cbranch_execz .LBB4_899
; %bb.892:                              ;   in Loop: Header=BB4_707 Depth=2
	v_cmp_ne_u16_sdwa vcc, sext(v10), s63 src0_sel:BYTE_0 src1_sel:DWORD
	v_bfrev_b32_e32 v22, 1
	s_and_saveexec_b64 s[46:47], vcc
	s_cbranch_execz .LBB4_898
; %bb.893:                              ;   in Loop: Header=BB4_707 Depth=2
	v_and_b32_e32 v22, 0x7c, v10
	v_and_b32_e32 v3, 3, v10
	v_cmp_ne_u32_e32 vcc, s64, v22
                                        ; implicit-def: $vgpr22
	s_and_saveexec_b64 s[48:49], vcc
	s_xor_b64 s[48:49], exec, s[48:49]
	s_cbranch_execz .LBB4_895
; %bb.894:                              ;   in Loop: Header=BB4_707 Depth=2
	v_ffbh_u32_e32 v32, v3
	v_bfe_u32 v22, v10, 2, 5
	v_min_u32_e32 v32, 32, v32
	v_subrev_u32_e32 v36, 29, v32
	v_sub_u32_e32 v32, 30, v32
	v_cmp_eq_u32_e32 vcc, 0, v22
	v_lshlrev_b64 v[36:37], v36, v[10:11]
	v_cndmask_b32_e32 v22, v22, v32, vcc
	v_and_b32_e32 v36, 3, v36
	v_lshlrev_b32_e32 v32, 24, v10
	v_lshl_add_u32 v22, v22, 23, v7
	v_cndmask_b32_e32 v3, v3, v36, vcc
	v_and_or_b32 v22, v32, s65, v22
	v_lshl_or_b32 v22, v3, 21, v22
                                        ; implicit-def: $vgpr3
.LBB4_895:                              ;   in Loop: Header=BB4_707 Depth=2
	s_andn2_saveexec_b64 s[48:49], s[48:49]
; %bb.896:                              ;   in Loop: Header=BB4_707 Depth=2
	v_cmp_gt_i16_sdwa vcc, sext(v10), v47 src0_sel:BYTE_0 src1_sel:DWORD
	v_cndmask_b32_e32 v22, v24, v25, vcc
	v_cmp_eq_u32_e32 vcc, 0, v3
	v_cndmask_b32_e32 v22, v6, v22, vcc
; %bb.897:                              ;   in Loop: Header=BB4_707 Depth=2
	s_or_b64 exec, exec, s[48:49]
.LBB4_898:                              ;   in Loop: Header=BB4_707 Depth=2
	s_or_b64 exec, exec, s[46:47]
.LBB4_899:                              ;   in Loop: Header=BB4_707 Depth=2
	s_or_b64 exec, exec, s[16:17]
	v_add_f32_e32 v22, v21, v22
	v_and_b32_sdwa v3, v22, s66 dst_sel:DWORD dst_unused:UNUSED_PAD src0_sel:BYTE_3 src1_sel:DWORD
	v_and_b32_e32 v36, 0x7f800000, v22
	v_mov_b32_e32 v37, v55
	v_and_b32_e32 v54, 0x7fffff, v22
	v_or_b32_e32 v21, 0x7b, v3
	v_cmp_ne_u64_e32 vcc, s[38:39], v[36:37]
	s_and_saveexec_b64 s[16:17], vcc
	s_xor_b64 s[46:47], exec, s[16:17]
	s_cbranch_execz .LBB4_909
; %bb.900:                              ;   in Loop: Header=BB4_707 Depth=2
	v_and_b32_e32 v36, 0x7fffffff, v22
	v_mov_b32_e32 v37, v55
	v_cmp_gt_u64_e32 vcc, s[40:41], v[36:37]
	s_and_saveexec_b64 s[48:49], vcc
	s_cbranch_execz .LBB4_908
; %bb.901:                              ;   in Loop: Header=BB4_707 Depth=2
	v_cmp_ne_u32_e32 vcc, 0, v22
	v_mov_b32_e32 v21, 0
	s_and_saveexec_b64 s[50:51], vcc
	s_cbranch_execz .LBB4_907
; %bb.902:                              ;   in Loop: Header=BB4_707 Depth=2
	v_bfe_u32 v21, v22, 23, 8
	v_sub_u32_e32 v32, 0x71, v21
	v_cmp_gt_u32_e32 vcc, s67, v21
	v_add_u32_e32 v22, 0xffffff81, v21
	v_cndmask_b32_e32 v32, 0, v32, vcc
	v_cmp_eq_u32_e32 vcc, 0, v21
	v_cndmask_b32_e32 v21, v22, v48, vcc
	v_cndmask_b32_e32 v22, v32, v49, vcc
	v_or_b32_e32 v36, 0x800000, v54
	v_add_u32_e32 v32, 21, v22
	v_cndmask_b32_e32 v54, v36, v54, vcc
	v_lshlrev_b64 v[36:37], v32, -1
	v_not_b32_e32 v32, v37
	v_and_b32_e32 v37, 0, v32
	v_add_u32_e32 v32, 20, v22
	v_lshrrev_b64 v[60:61], v22, v[54:55]
	v_not_b32_e32 v36, v36
	v_lshlrev_b64 v[40:41], v32, 1
	v_lshrrev_b32_e32 v32, 23, v60
	v_and_b32_e32 v36, v54, v36
	v_add3_u32 v32, v22, v21, v32
	v_bfe_u32 v21, v60, 21, 1
	v_add_u32_e32 v21, -1, v21
	v_cmp_eq_u64_e32 vcc, v[36:37], v[40:41]
	v_cndmask_b32_e32 v21, 0, v21, vcc
	v_add_u32_e32 v21, v21, v60
	v_and_b32_e32 v21, 0x1fffff, v21
	v_add_co_u32_e32 v40, vcc, v21, v60
	v_add_u32_e32 v22, 14, v32
	v_addc_co_u32_e32 v41, vcc, 0, v61, vcc
	v_cmp_ne_u32_e32 vcc, 0, v22
                                        ; implicit-def: $vgpr21
	s_and_saveexec_b64 s[16:17], vcc
	s_xor_b64 s[16:17], exec, s[16:17]
; %bb.903:                              ;   in Loop: Header=BB4_707 Depth=2
	v_add_u32_e32 v21, 15, v32
	v_cmp_lt_u64_e32 vcc, s[42:43], v[40:41]
	v_cndmask_b32_e32 v21, v22, v21, vcc
	v_cndmask_b32_e64 v22, 0, 1, vcc
	v_lshrrev_b64 v[40:41], v22, v[40:41]
; %bb.904:                              ;   in Loop: Header=BB4_707 Depth=2
	s_andn2_saveexec_b64 s[16:17], s[16:17]
; %bb.905:                              ;   in Loop: Header=BB4_707 Depth=2
	v_bfe_u32 v21, v40, 23, 1
; %bb.906:                              ;   in Loop: Header=BB4_707 Depth=2
	s_or_b64 exec, exec, s[16:17]
	v_lshrrev_b64 v[36:37], 21, v[40:41]
	v_cmp_gt_i32_e32 vcc, 32, v21
	v_cndmask_b32_e32 v37, 0, v37, vcc
	v_cndmask_b32_e32 v36, 3, v36, vcc
	v_cmp_eq_u32_e32 vcc, 0, v21
	v_min_i32_e32 v21, 31, v21
	v_cmp_eq_u64_e64 s[16:17], 0, v[36:37]
	v_lshlrev_b32_e32 v21, 2, v21
	v_and_or_b32 v21, v36, 3, v21
	s_and_b64 s[16:17], vcc, s[16:17]
	v_cndmask_b32_e64 v21, v21, 0, s[16:17]
	v_or_b32_e32 v21, v21, v3
.LBB4_907:                              ;   in Loop: Header=BB4_707 Depth=2
	s_or_b64 exec, exec, s[50:51]
.LBB4_908:                              ;   in Loop: Header=BB4_707 Depth=2
	s_or_b64 exec, exec, s[48:49]
                                        ; implicit-def: $vgpr22
.LBB4_909:                              ;   in Loop: Header=BB4_707 Depth=2
	s_andn2_saveexec_b64 s[16:17], s[46:47]
; %bb.910:                              ;   in Loop: Header=BB4_707 Depth=2
	v_or_b32_sdwa v3, v22, s68 dst_sel:DWORD dst_unused:UNUSED_PAD src0_sel:BYTE_3 src1_sel:DWORD
	v_cmp_eq_u64_e32 vcc, 0, v[54:55]
	v_cndmask_b32_e32 v21, v3, v21, vcc
; %bb.911:                              ;   in Loop: Header=BB4_707 Depth=2
	s_or_b64 exec, exec, s[16:17]
	v_lshrrev_b16_e32 v54, 8, v2
	v_cmp_ne_u16_e32 vcc, 0, v54
	v_mov_b32_e32 v3, 0
	v_mov_b32_e32 v22, 0
	s_and_saveexec_b64 s[16:17], vcc
	s_cbranch_execz .LBB4_919
; %bb.912:                              ;   in Loop: Header=BB4_707 Depth=2
	v_cmp_ne_u16_e32 vcc, s66, v54
	v_bfrev_b32_e32 v22, 1
	s_and_saveexec_b64 s[46:47], vcc
	s_cbranch_execz .LBB4_918
; %bb.913:                              ;   in Loop: Header=BB4_707 Depth=2
	v_and_b32_e32 v22, 0x7c, v54
	v_and_b32_e32 v32, 3, v54
	v_cmp_ne_u32_e32 vcc, s64, v22
                                        ; implicit-def: $vgpr22
	s_and_saveexec_b64 s[48:49], vcc
	s_xor_b64 s[48:49], exec, s[48:49]
	s_cbranch_execz .LBB4_915
; %bb.914:                              ;   in Loop: Header=BB4_707 Depth=2
	v_ffbh_u32_e32 v36, v32
	v_min_u32_e32 v38, 32, v36
	v_subrev_u32_e32 v36, 29, v38
	v_bfe_u32 v22, v54, 2, 5
	v_lshlrev_b64 v[36:37], v36, v[54:55]
	v_sub_u32_e32 v37, 30, v38
	v_cmp_eq_u32_e32 vcc, 0, v22
	v_and_b32_e32 v36, 3, v36
	v_cndmask_b32_e32 v22, v22, v37, vcc
	v_cndmask_b32_e32 v32, v32, v36, vcc
	v_lshlrev_b32_e32 v36, 16, v2
	v_lshl_add_u32 v22, v22, 23, v7
	v_and_or_b32 v22, v36, s65, v22
	v_lshl_or_b32 v22, v32, 21, v22
                                        ; implicit-def: $vgpr32
.LBB4_915:                              ;   in Loop: Header=BB4_707 Depth=2
	s_andn2_saveexec_b64 s[48:49], s[48:49]
; %bb.916:                              ;   in Loop: Header=BB4_707 Depth=2
	v_cmp_lt_i16_e32 vcc, -1, v2
	v_cndmask_b32_e32 v22, v24, v25, vcc
	v_cmp_eq_u32_e32 vcc, 0, v32
	v_cndmask_b32_e32 v22, v6, v22, vcc
; %bb.917:                              ;   in Loop: Header=BB4_707 Depth=2
	s_or_b64 exec, exec, s[48:49]
.LBB4_918:                              ;   in Loop: Header=BB4_707 Depth=2
	s_or_b64 exec, exec, s[46:47]
.LBB4_919:                              ;   in Loop: Header=BB4_707 Depth=2
	s_or_b64 exec, exec, s[16:17]
	v_perm_b32 v10, v11, v10, s72
	v_lshrrev_b16_e32 v54, 8, v10
	v_cmp_ne_u16_e32 vcc, 0, v54
	s_and_saveexec_b64 s[16:17], vcc
	s_cbranch_execz .LBB4_927
; %bb.920:                              ;   in Loop: Header=BB4_707 Depth=2
	v_cmp_ne_u16_e32 vcc, s66, v54
	v_bfrev_b32_e32 v3, 1
	s_and_saveexec_b64 s[46:47], vcc
	s_cbranch_execz .LBB4_926
; %bb.921:                              ;   in Loop: Header=BB4_707 Depth=2
	v_and_b32_e32 v3, 0x7c, v54
	v_and_b32_e32 v11, 3, v54
	v_cmp_ne_u32_e32 vcc, s64, v3
                                        ; implicit-def: $vgpr3
	s_and_saveexec_b64 s[48:49], vcc
	s_xor_b64 s[48:49], exec, s[48:49]
	s_cbranch_execz .LBB4_923
; %bb.922:                              ;   in Loop: Header=BB4_707 Depth=2
	v_ffbh_u32_e32 v32, v11
	v_bfe_u32 v3, v54, 2, 5
	v_min_u32_e32 v32, 32, v32
	v_subrev_u32_e32 v36, 29, v32
	v_sub_u32_e32 v32, 30, v32
	v_cmp_eq_u32_e32 vcc, 0, v3
	v_lshlrev_b64 v[36:37], v36, v[54:55]
	v_cndmask_b32_e32 v3, v3, v32, vcc
	v_and_b32_e32 v36, 3, v36
	v_lshlrev_b32_e32 v10, 16, v10
	v_lshl_add_u32 v3, v3, 23, v7
	v_cndmask_b32_e32 v11, v11, v36, vcc
	v_and_or_b32 v3, v10, s65, v3
	v_lshl_or_b32 v3, v11, 21, v3
                                        ; implicit-def: $vgpr11
                                        ; implicit-def: $vgpr10
.LBB4_923:                              ;   in Loop: Header=BB4_707 Depth=2
	s_andn2_saveexec_b64 s[48:49], s[48:49]
; %bb.924:                              ;   in Loop: Header=BB4_707 Depth=2
	v_cmp_lt_i16_e32 vcc, -1, v10
	v_cndmask_b32_e32 v3, v24, v25, vcc
	v_cmp_eq_u32_e32 vcc, 0, v11
	v_cndmask_b32_e32 v3, v6, v3, vcc
; %bb.925:                              ;   in Loop: Header=BB4_707 Depth=2
	s_or_b64 exec, exec, s[48:49]
.LBB4_926:                              ;   in Loop: Header=BB4_707 Depth=2
	s_or_b64 exec, exec, s[46:47]
.LBB4_927:                              ;   in Loop: Header=BB4_707 Depth=2
	s_or_b64 exec, exec, s[16:17]
	v_add_f32_e32 v10, v22, v3
	v_and_b32_sdwa v3, v10, s66 dst_sel:DWORD dst_unused:UNUSED_PAD src0_sel:BYTE_3 src1_sel:DWORD
	v_and_b32_e32 v36, 0x7f800000, v10
	v_mov_b32_e32 v37, v55
	v_and_b32_e32 v54, 0x7fffff, v10
	v_or_b32_e32 v32, 0x7b, v3
	v_cmp_ne_u64_e32 vcc, s[38:39], v[36:37]
	s_and_saveexec_b64 s[16:17], vcc
	s_xor_b64 s[46:47], exec, s[16:17]
	s_cbranch_execz .LBB4_937
; %bb.928:                              ;   in Loop: Header=BB4_707 Depth=2
	v_and_b32_e32 v36, 0x7fffffff, v10
	v_mov_b32_e32 v37, v55
	v_cmp_gt_u64_e32 vcc, s[40:41], v[36:37]
	s_and_saveexec_b64 s[48:49], vcc
	s_cbranch_execz .LBB4_936
; %bb.929:                              ;   in Loop: Header=BB4_707 Depth=2
	v_cmp_ne_u32_e32 vcc, 0, v10
	v_mov_b32_e32 v32, 0
	s_and_saveexec_b64 s[50:51], vcc
	s_cbranch_execz .LBB4_935
; %bb.930:                              ;   in Loop: Header=BB4_707 Depth=2
	v_bfe_u32 v10, v10, 23, 8
	v_sub_u32_e32 v22, 0x71, v10
	v_cmp_gt_u32_e32 vcc, s67, v10
	v_cndmask_b32_e32 v22, 0, v22, vcc
	v_cmp_eq_u32_e32 vcc, 0, v10
	v_or_b32_e32 v32, 0x800000, v54
	v_cndmask_b32_e32 v22, v22, v49, vcc
	v_add_u32_e32 v11, 0xffffff81, v10
	v_cndmask_b32_e32 v54, v32, v54, vcc
	v_add_u32_e32 v10, 21, v22
	v_cndmask_b32_e32 v36, v11, v48, vcc
	v_lshlrev_b64 v[10:11], v10, -1
	v_add_u32_e32 v32, 20, v22
	v_lshrrev_b64 v[60:61], v22, v[54:55]
	v_not_b32_e32 v11, v11
	v_not_b32_e32 v10, v10
	v_lshlrev_b64 v[40:41], v32, 1
	v_lshrrev_b32_e32 v32, 23, v60
	v_and_b32_e32 v11, 0, v11
	v_and_b32_e32 v10, v54, v10
	v_add3_u32 v36, v22, v36, v32
	v_bfe_u32 v22, v60, 21, 1
	v_add_u32_e32 v22, -1, v22
	v_cmp_eq_u64_e32 vcc, v[10:11], v[40:41]
	v_cndmask_b32_e32 v10, 0, v22, vcc
	v_add_u32_e32 v10, v10, v60
	v_and_b32_e32 v10, 0x1fffff, v10
	v_add_co_u32_e32 v10, vcc, v10, v60
	v_add_u32_e32 v32, 14, v36
	v_addc_co_u32_e32 v11, vcc, 0, v61, vcc
	v_cmp_ne_u32_e32 vcc, 0, v32
                                        ; implicit-def: $vgpr22
	s_and_saveexec_b64 s[16:17], vcc
	s_xor_b64 s[16:17], exec, s[16:17]
; %bb.931:                              ;   in Loop: Header=BB4_707 Depth=2
	v_add_u32_e32 v22, 15, v36
	v_cmp_lt_u64_e32 vcc, s[42:43], v[10:11]
	v_cndmask_b32_e32 v22, v32, v22, vcc
	v_cndmask_b32_e64 v32, 0, 1, vcc
	v_lshrrev_b64 v[10:11], v32, v[10:11]
; %bb.932:                              ;   in Loop: Header=BB4_707 Depth=2
	s_andn2_saveexec_b64 s[16:17], s[16:17]
; %bb.933:                              ;   in Loop: Header=BB4_707 Depth=2
	v_bfe_u32 v22, v10, 23, 1
; %bb.934:                              ;   in Loop: Header=BB4_707 Depth=2
	s_or_b64 exec, exec, s[16:17]
	v_lshrrev_b64 v[10:11], 21, v[10:11]
	v_cmp_gt_i32_e32 vcc, 32, v22
	v_cndmask_b32_e32 v11, 0, v11, vcc
	v_cndmask_b32_e32 v10, 3, v10, vcc
	v_cmp_eq_u64_e64 s[16:17], 0, v[10:11]
	v_min_i32_e32 v11, 31, v22
	v_cmp_eq_u32_e32 vcc, 0, v22
	v_lshlrev_b32_e32 v11, 2, v11
	v_and_or_b32 v10, v10, 3, v11
	s_and_b64 s[16:17], vcc, s[16:17]
	v_cndmask_b32_e64 v10, v10, 0, s[16:17]
	v_or_b32_e32 v32, v10, v3
.LBB4_935:                              ;   in Loop: Header=BB4_707 Depth=2
	s_or_b64 exec, exec, s[50:51]
.LBB4_936:                              ;   in Loop: Header=BB4_707 Depth=2
	s_or_b64 exec, exec, s[48:49]
                                        ; implicit-def: $vgpr10
.LBB4_937:                              ;   in Loop: Header=BB4_707 Depth=2
	s_andn2_saveexec_b64 s[16:17], s[46:47]
; %bb.938:                              ;   in Loop: Header=BB4_707 Depth=2
	v_or_b32_sdwa v3, v10, s68 dst_sel:DWORD dst_unused:UNUSED_PAD src0_sel:BYTE_3 src1_sel:DWORD
	v_cmp_eq_u64_e32 vcc, 0, v[54:55]
	v_cndmask_b32_e32 v32, v3, v32, vcc
; %bb.939:                              ;   in Loop: Header=BB4_707 Depth=2
	s_or_b64 exec, exec, s[16:17]
	v_lshrrev_b32_e32 v10, 16, v2
	v_cmp_ne_u16_sdwa vcc, v10, v55 src0_sel:BYTE_0 src1_sel:DWORD
	v_mov_b32_e32 v3, 0
	v_mov_b32_e32 v11, 0
	s_and_saveexec_b64 s[16:17], vcc
	s_cbranch_execz .LBB4_947
; %bb.940:                              ;   in Loop: Header=BB4_707 Depth=2
	v_cmp_ne_u16_sdwa vcc, v10, s66 src0_sel:BYTE_0 src1_sel:DWORD
	v_bfrev_b32_e32 v11, 1
	s_and_saveexec_b64 s[46:47], vcc
	s_cbranch_execz .LBB4_946
; %bb.941:                              ;   in Loop: Header=BB4_707 Depth=2
	v_and_b32_e32 v11, 0x7c0000, v2
	v_bfe_u32 v22, v2, 16, 2
	v_cmp_ne_u32_e32 vcc, s69, v11
                                        ; implicit-def: $vgpr11
	s_and_saveexec_b64 s[48:49], vcc
	s_xor_b64 s[48:49], exec, s[48:49]
	s_cbranch_execz .LBB4_943
; %bb.942:                              ;   in Loop: Header=BB4_707 Depth=2
	v_ffbh_u32_e32 v11, v22
	v_min_u32_e32 v37, 32, v11
	v_subrev_u32_e32 v11, 29, v37
	v_bfe_u32 v36, v2, 18, 5
	v_lshlrev_b64 v[10:11], v11, v[10:11]
	v_sub_u32_e32 v11, 30, v37
	v_cmp_eq_u32_e32 vcc, 0, v36
	v_and_b32_e32 v10, 3, v10
	v_cndmask_b32_e32 v11, v36, v11, vcc
	v_cndmask_b32_e32 v10, v22, v10, vcc
	v_lshlrev_b32_e32 v22, 8, v2
	v_lshl_add_u32 v11, v11, 23, v7
	v_and_or_b32 v11, v22, s65, v11
	v_lshl_or_b32 v11, v10, 21, v11
                                        ; implicit-def: $vgpr22
                                        ; implicit-def: $vgpr10
.LBB4_943:                              ;   in Loop: Header=BB4_707 Depth=2
	s_andn2_saveexec_b64 s[48:49], s[48:49]
; %bb.944:                              ;   in Loop: Header=BB4_707 Depth=2
	v_cmp_gt_i16_sdwa vcc, sext(v10), v47 src0_sel:BYTE_0 src1_sel:DWORD
	v_cndmask_b32_e32 v10, v24, v25, vcc
	v_cmp_eq_u32_e32 vcc, 0, v22
	v_cndmask_b32_e32 v11, v6, v10, vcc
; %bb.945:                              ;   in Loop: Header=BB4_707 Depth=2
	s_or_b64 exec, exec, s[48:49]
.LBB4_946:                              ;   in Loop: Header=BB4_707 Depth=2
	s_or_b64 exec, exec, s[46:47]
.LBB4_947:                              ;   in Loop: Header=BB4_707 Depth=2
	s_or_b64 exec, exec, s[16:17]
	v_cmp_ne_u16_sdwa vcc, v28, v55 src0_sel:BYTE_0 src1_sel:DWORD
	s_and_saveexec_b64 s[16:17], vcc
	s_cbranch_execz .LBB4_955
; %bb.948:                              ;   in Loop: Header=BB4_707 Depth=2
	v_cmp_ne_u16_sdwa vcc, sext(v28), s63 src0_sel:BYTE_0 src1_sel:DWORD
	v_bfrev_b32_e32 v3, 1
	s_and_saveexec_b64 s[46:47], vcc
	s_cbranch_execz .LBB4_954
; %bb.949:                              ;   in Loop: Header=BB4_707 Depth=2
	v_and_b32_e32 v3, 0x7c, v28
	v_and_b32_e32 v10, 3, v28
	v_cmp_ne_u32_e32 vcc, s64, v3
                                        ; implicit-def: $vgpr3
	s_and_saveexec_b64 s[48:49], vcc
	s_xor_b64 s[48:49], exec, s[48:49]
	s_cbranch_execz .LBB4_951
; %bb.950:                              ;   in Loop: Header=BB4_707 Depth=2
	v_ffbh_u32_e32 v22, v10
	v_bfe_u32 v3, v28, 2, 5
	v_min_u32_e32 v22, 32, v22
	v_subrev_u32_e32 v36, 29, v22
	v_sub_u32_e32 v22, 30, v22
	v_cmp_eq_u32_e32 vcc, 0, v3
	v_lshlrev_b64 v[36:37], v36, v[28:29]
	v_cndmask_b32_e32 v3, v3, v22, vcc
	v_and_b32_e32 v36, 3, v36
	v_lshlrev_b32_e32 v22, 24, v28
	v_lshl_add_u32 v3, v3, 23, v7
	v_cndmask_b32_e32 v10, v10, v36, vcc
	v_and_or_b32 v3, v22, s65, v3
	v_lshl_or_b32 v3, v10, 21, v3
                                        ; implicit-def: $vgpr10
.LBB4_951:                              ;   in Loop: Header=BB4_707 Depth=2
	s_andn2_saveexec_b64 s[48:49], s[48:49]
; %bb.952:                              ;   in Loop: Header=BB4_707 Depth=2
	v_cmp_gt_i16_sdwa vcc, sext(v28), v47 src0_sel:BYTE_0 src1_sel:DWORD
	v_cndmask_b32_e32 v3, v24, v25, vcc
	v_cmp_eq_u32_e32 vcc, 0, v10
	v_cndmask_b32_e32 v3, v6, v3, vcc
; %bb.953:                              ;   in Loop: Header=BB4_707 Depth=2
	s_or_b64 exec, exec, s[48:49]
.LBB4_954:                              ;   in Loop: Header=BB4_707 Depth=2
	s_or_b64 exec, exec, s[46:47]
.LBB4_955:                              ;   in Loop: Header=BB4_707 Depth=2
	s_or_b64 exec, exec, s[16:17]
	v_add_f32_e32 v10, v11, v3
	v_and_b32_sdwa v3, v10, s66 dst_sel:DWORD dst_unused:UNUSED_PAD src0_sel:BYTE_3 src1_sel:DWORD
	v_and_b32_e32 v36, 0x7f800000, v10
	v_mov_b32_e32 v37, v55
	v_and_b32_e32 v54, 0x7fffff, v10
	v_or_b32_e32 v11, 0x7b, v3
	v_cmp_ne_u64_e32 vcc, s[38:39], v[36:37]
	s_and_saveexec_b64 s[16:17], vcc
	s_xor_b64 s[46:47], exec, s[16:17]
	s_cbranch_execz .LBB4_965
; %bb.956:                              ;   in Loop: Header=BB4_707 Depth=2
	v_and_b32_e32 v36, 0x7fffffff, v10
	v_mov_b32_e32 v37, v55
	v_cmp_gt_u64_e32 vcc, s[40:41], v[36:37]
	s_and_saveexec_b64 s[48:49], vcc
	s_cbranch_execz .LBB4_964
; %bb.957:                              ;   in Loop: Header=BB4_707 Depth=2
	v_cmp_ne_u32_e32 vcc, 0, v10
	v_mov_b32_e32 v11, 0
	s_and_saveexec_b64 s[50:51], vcc
	s_cbranch_execz .LBB4_963
; %bb.958:                              ;   in Loop: Header=BB4_707 Depth=2
	v_bfe_u32 v10, v10, 23, 8
	v_sub_u32_e32 v22, 0x71, v10
	v_cmp_gt_u32_e32 vcc, s67, v10
	v_cndmask_b32_e32 v22, 0, v22, vcc
	v_cmp_eq_u32_e32 vcc, 0, v10
	v_or_b32_e32 v36, 0x800000, v54
	v_cndmask_b32_e32 v22, v22, v49, vcc
	v_add_u32_e32 v11, 0xffffff81, v10
	v_cndmask_b32_e32 v54, v36, v54, vcc
	v_add_u32_e32 v10, 21, v22
	v_cndmask_b32_e32 v37, v11, v48, vcc
	v_lshlrev_b64 v[10:11], v10, -1
	v_add_u32_e32 v36, 20, v22
	v_lshrrev_b64 v[60:61], v22, v[54:55]
	v_not_b32_e32 v11, v11
	v_not_b32_e32 v10, v10
	v_lshlrev_b64 v[40:41], v36, 1
	v_lshrrev_b32_e32 v36, 23, v60
	v_and_b32_e32 v11, 0, v11
	v_and_b32_e32 v10, v54, v10
	v_add3_u32 v37, v22, v37, v36
	v_bfe_u32 v22, v60, 21, 1
	v_add_u32_e32 v22, -1, v22
	v_cmp_eq_u64_e32 vcc, v[10:11], v[40:41]
	v_cndmask_b32_e32 v10, 0, v22, vcc
	v_add_u32_e32 v10, v10, v60
	v_and_b32_e32 v10, 0x1fffff, v10
	v_add_co_u32_e32 v10, vcc, v10, v60
	v_add_u32_e32 v36, 14, v37
	v_addc_co_u32_e32 v11, vcc, 0, v61, vcc
	v_cmp_ne_u32_e32 vcc, 0, v36
                                        ; implicit-def: $vgpr22
	s_and_saveexec_b64 s[16:17], vcc
	s_xor_b64 s[16:17], exec, s[16:17]
; %bb.959:                              ;   in Loop: Header=BB4_707 Depth=2
	v_add_u32_e32 v22, 15, v37
	v_cmp_lt_u64_e32 vcc, s[42:43], v[10:11]
	v_cndmask_b32_e32 v22, v36, v22, vcc
	v_cndmask_b32_e64 v36, 0, 1, vcc
	v_lshrrev_b64 v[10:11], v36, v[10:11]
; %bb.960:                              ;   in Loop: Header=BB4_707 Depth=2
	s_andn2_saveexec_b64 s[16:17], s[16:17]
; %bb.961:                              ;   in Loop: Header=BB4_707 Depth=2
	v_bfe_u32 v22, v10, 23, 1
; %bb.962:                              ;   in Loop: Header=BB4_707 Depth=2
	s_or_b64 exec, exec, s[16:17]
	v_lshrrev_b64 v[10:11], 21, v[10:11]
	v_cmp_gt_i32_e32 vcc, 32, v22
	v_cndmask_b32_e32 v11, 0, v11, vcc
	v_cndmask_b32_e32 v10, 3, v10, vcc
	v_cmp_eq_u64_e64 s[16:17], 0, v[10:11]
	v_min_i32_e32 v11, 31, v22
	v_cmp_eq_u32_e32 vcc, 0, v22
	v_lshlrev_b32_e32 v11, 2, v11
	v_and_or_b32 v10, v10, 3, v11
	s_and_b64 s[16:17], vcc, s[16:17]
	v_cndmask_b32_e64 v10, v10, 0, s[16:17]
	v_or_b32_e32 v11, v10, v3
.LBB4_963:                              ;   in Loop: Header=BB4_707 Depth=2
	s_or_b64 exec, exec, s[50:51]
.LBB4_964:                              ;   in Loop: Header=BB4_707 Depth=2
	s_or_b64 exec, exec, s[48:49]
                                        ; implicit-def: $vgpr10
.LBB4_965:                              ;   in Loop: Header=BB4_707 Depth=2
	s_andn2_saveexec_b64 s[16:17], s[46:47]
; %bb.966:                              ;   in Loop: Header=BB4_707 Depth=2
	v_or_b32_sdwa v3, v10, s68 dst_sel:DWORD dst_unused:UNUSED_PAD src0_sel:BYTE_3 src1_sel:DWORD
	v_cmp_eq_u64_e32 vcc, 0, v[54:55]
	v_cndmask_b32_e32 v11, v3, v11, vcc
; %bb.967:                              ;   in Loop: Header=BB4_707 Depth=2
	s_or_b64 exec, exec, s[16:17]
	v_cmp_lt_u32_e32 vcc, s37, v2
	v_mov_b32_e32 v22, 0
	v_mov_b32_e32 v3, 0
	s_and_saveexec_b64 s[16:17], vcc
	s_cbranch_execz .LBB4_975
; %bb.968:                              ;   in Loop: Header=BB4_707 Depth=2
	v_lshrrev_b32_e32 v10, 24, v2
	v_cmp_ne_u32_e32 vcc, s66, v10
	v_bfrev_b32_e32 v3, 1
	s_and_saveexec_b64 s[46:47], vcc
	s_cbranch_execz .LBB4_974
; %bb.969:                              ;   in Loop: Header=BB4_707 Depth=2
	v_and_b32_e32 v3, 0x7c000000, v2
	v_bfe_u32 v36, v2, 24, 2
	v_cmp_ne_u32_e32 vcc, s70, v3
                                        ; implicit-def: $vgpr3
	s_and_saveexec_b64 s[48:49], vcc
	s_xor_b64 s[48:49], exec, s[48:49]
	s_cbranch_execz .LBB4_971
; %bb.970:                              ;   in Loop: Header=BB4_707 Depth=2
	v_ffbh_u32_e32 v37, v36
	v_min_u32_e32 v37, 32, v37
	v_bfe_u32 v3, v2, 26, 5
	v_subrev_u32_e32 v38, 29, v37
	v_lshlrev_b64 v[40:41], v38, v[10:11]
	v_sub_u32_e32 v10, 30, v37
	v_cmp_eq_u32_e32 vcc, 0, v3
	v_cndmask_b32_e32 v3, v3, v10, vcc
	v_and_b32_e32 v37, 3, v40
	v_lshl_add_u32 v3, v3, 23, v7
	v_cndmask_b32_e32 v10, v36, v37, vcc
	v_and_or_b32 v2, v2, s65, v3
	v_lshl_or_b32 v3, v10, 21, v2
                                        ; implicit-def: $vgpr36
.LBB4_971:                              ;   in Loop: Header=BB4_707 Depth=2
	s_andn2_saveexec_b64 s[48:49], s[48:49]
; %bb.972:                              ;   in Loop: Header=BB4_707 Depth=2
	v_cmp_lt_i32_e32 vcc, -1, v2
	v_cndmask_b32_e32 v2, v24, v25, vcc
	v_cmp_eq_u32_e32 vcc, 0, v36
	v_cndmask_b32_e32 v3, v6, v2, vcc
; %bb.973:                              ;   in Loop: Header=BB4_707 Depth=2
	s_or_b64 exec, exec, s[48:49]
.LBB4_974:                              ;   in Loop: Header=BB4_707 Depth=2
	s_or_b64 exec, exec, s[46:47]
.LBB4_975:                              ;   in Loop: Header=BB4_707 Depth=2
	s_or_b64 exec, exec, s[16:17]
	v_lshlrev_b32_e32 v36, 8, v31
	v_and_b32_e32 v37, 0xff00, v36
	v_cmp_ne_u32_e32 vcc, 0, v37
	s_and_saveexec_b64 s[16:17], vcc
	s_cbranch_execz .LBB4_983
; %bb.976:                              ;   in Loop: Header=BB4_707 Depth=2
	v_cmp_ne_u32_e32 vcc, s74, v37
	v_bfrev_b32_e32 v22, 1
	s_and_saveexec_b64 s[46:47], vcc
	s_cbranch_execz .LBB4_982
; %bb.977:                              ;   in Loop: Header=BB4_707 Depth=2
	v_and_or_b32 v10, v28, s62, v37
	v_and_b32_e32 v22, 0x7c, v31
	v_bfe_u32 v2, v37, 8, 2
	v_lshlrev_b32_e32 v10, 16, v10
	v_cmp_ne_u32_e32 vcc, s64, v22
                                        ; implicit-def: $vgpr22
	s_and_saveexec_b64 s[48:49], vcc
	s_xor_b64 s[48:49], exec, s[48:49]
	s_cbranch_execz .LBB4_979
; %bb.978:                              ;   in Loop: Header=BB4_707 Depth=2
	v_ffbh_u32_e32 v31, v2
	v_min_u32_e32 v31, 32, v31
	v_lshrrev_b32_e32 v22, 8, v37
	v_bfe_u32 v28, v36, 10, 5
	v_subrev_u32_e32 v36, 29, v31
	v_lshlrev_b64 v[36:37], v36, v[22:23]
	v_sub_u32_e32 v22, 30, v31
	v_cmp_eq_u32_e32 vcc, 0, v28
	v_cndmask_b32_e32 v22, v28, v22, vcc
	v_and_b32_e32 v31, 3, v36
	v_lshl_add_u32 v22, v22, 23, v7
	v_cndmask_b32_e32 v2, v2, v31, vcc
	v_and_or_b32 v10, v10, s65, v22
	v_lshl_or_b32 v22, v2, 21, v10
                                        ; implicit-def: $vgpr2
                                        ; implicit-def: $vgpr10
.LBB4_979:                              ;   in Loop: Header=BB4_707 Depth=2
	s_andn2_saveexec_b64 s[48:49], s[48:49]
; %bb.980:                              ;   in Loop: Header=BB4_707 Depth=2
	v_cmp_lt_i32_e32 vcc, -1, v10
	v_cndmask_b32_e32 v10, v24, v25, vcc
	v_cmp_eq_u32_e32 vcc, 0, v2
	v_cndmask_b32_e32 v22, v6, v10, vcc
; %bb.981:                              ;   in Loop: Header=BB4_707 Depth=2
	s_or_b64 exec, exec, s[48:49]
.LBB4_982:                              ;   in Loop: Header=BB4_707 Depth=2
	s_or_b64 exec, exec, s[46:47]
.LBB4_983:                              ;   in Loop: Header=BB4_707 Depth=2
	s_or_b64 exec, exec, s[16:17]
	v_add_f32_e32 v2, v3, v22
	v_and_b32_sdwa v10, v2, s66 dst_sel:DWORD dst_unused:UNUSED_PAD src0_sel:BYTE_3 src1_sel:DWORD
	v_and_b32_e32 v36, 0x7f800000, v2
	v_mov_b32_e32 v37, v55
	v_and_b32_e32 v54, 0x7fffff, v2
	v_or_b32_e32 v22, 0x7b, v10
	v_cmp_ne_u64_e32 vcc, s[38:39], v[36:37]
	s_and_saveexec_b64 s[16:17], vcc
	s_xor_b64 s[46:47], exec, s[16:17]
	s_cbranch_execz .LBB4_993
; %bb.984:                              ;   in Loop: Header=BB4_707 Depth=2
	v_and_b32_e32 v36, 0x7fffffff, v2
	v_mov_b32_e32 v37, v55
	v_cmp_gt_u64_e32 vcc, s[40:41], v[36:37]
	s_and_saveexec_b64 s[48:49], vcc
	s_cbranch_execz .LBB4_992
; %bb.985:                              ;   in Loop: Header=BB4_707 Depth=2
	v_cmp_ne_u32_e32 vcc, 0, v2
	v_mov_b32_e32 v22, 0
	s_and_saveexec_b64 s[50:51], vcc
	s_cbranch_execz .LBB4_991
; %bb.986:                              ;   in Loop: Header=BB4_707 Depth=2
	v_bfe_u32 v2, v2, 23, 8
	v_sub_u32_e32 v22, 0x71, v2
	v_cmp_gt_u32_e32 vcc, s67, v2
	v_cndmask_b32_e32 v22, 0, v22, vcc
	v_cmp_eq_u32_e32 vcc, 0, v2
	v_or_b32_e32 v28, 0x800000, v54
	v_cndmask_b32_e32 v22, v22, v49, vcc
	v_add_u32_e32 v3, 0xffffff81, v2
	v_cndmask_b32_e32 v54, v28, v54, vcc
	v_add_u32_e32 v2, 21, v22
	v_cndmask_b32_e32 v31, v3, v48, vcc
	v_lshlrev_b64 v[2:3], v2, -1
	v_add_u32_e32 v28, 20, v22
	v_lshrrev_b64 v[40:41], v22, v[54:55]
	v_not_b32_e32 v3, v3
	v_not_b32_e32 v2, v2
	v_lshlrev_b64 v[36:37], v28, 1
	v_lshrrev_b32_e32 v28, 23, v40
	v_and_b32_e32 v3, 0, v3
	v_and_b32_e32 v2, v54, v2
	v_add3_u32 v31, v22, v31, v28
	v_bfe_u32 v22, v40, 21, 1
	v_add_u32_e32 v22, -1, v22
	v_cmp_eq_u64_e32 vcc, v[2:3], v[36:37]
	v_cndmask_b32_e32 v2, 0, v22, vcc
	v_add_u32_e32 v2, v2, v40
	v_and_b32_e32 v2, 0x1fffff, v2
	v_add_co_u32_e32 v2, vcc, v2, v40
	v_add_u32_e32 v28, 14, v31
	v_addc_co_u32_e32 v3, vcc, 0, v41, vcc
	v_cmp_ne_u32_e32 vcc, 0, v28
                                        ; implicit-def: $vgpr22
	s_and_saveexec_b64 s[16:17], vcc
	s_xor_b64 s[16:17], exec, s[16:17]
; %bb.987:                              ;   in Loop: Header=BB4_707 Depth=2
	v_add_u32_e32 v22, 15, v31
	v_cmp_lt_u64_e32 vcc, s[42:43], v[2:3]
	v_cndmask_b32_e32 v22, v28, v22, vcc
	v_cndmask_b32_e64 v28, 0, 1, vcc
	v_lshrrev_b64 v[2:3], v28, v[2:3]
; %bb.988:                              ;   in Loop: Header=BB4_707 Depth=2
	s_andn2_saveexec_b64 s[16:17], s[16:17]
; %bb.989:                              ;   in Loop: Header=BB4_707 Depth=2
	v_bfe_u32 v22, v2, 23, 1
; %bb.990:                              ;   in Loop: Header=BB4_707 Depth=2
	s_or_b64 exec, exec, s[16:17]
	v_lshrrev_b64 v[2:3], 21, v[2:3]
	v_cmp_gt_i32_e32 vcc, 32, v22
	v_cndmask_b32_e32 v3, 0, v3, vcc
	v_cndmask_b32_e32 v2, 3, v2, vcc
	v_cmp_eq_u64_e64 s[16:17], 0, v[2:3]
	v_min_i32_e32 v3, 31, v22
	v_cmp_eq_u32_e32 vcc, 0, v22
	v_lshlrev_b32_e32 v3, 2, v3
	v_and_or_b32 v2, v2, 3, v3
	s_and_b64 s[16:17], vcc, s[16:17]
	v_cndmask_b32_e64 v2, v2, 0, s[16:17]
	v_or_b32_e32 v22, v2, v10
.LBB4_991:                              ;   in Loop: Header=BB4_707 Depth=2
	s_or_b64 exec, exec, s[50:51]
.LBB4_992:                              ;   in Loop: Header=BB4_707 Depth=2
	s_or_b64 exec, exec, s[48:49]
                                        ; implicit-def: $vgpr2
.LBB4_993:                              ;   in Loop: Header=BB4_707 Depth=2
	s_andn2_saveexec_b64 s[16:17], s[46:47]
; %bb.994:                              ;   in Loop: Header=BB4_707 Depth=2
	v_or_b32_sdwa v2, v2, s68 dst_sel:DWORD dst_unused:UNUSED_PAD src0_sel:BYTE_3 src1_sel:DWORD
	v_cmp_eq_u64_e32 vcc, 0, v[54:55]
	v_cndmask_b32_e32 v22, v2, v22, vcc
; %bb.995:                              ;   in Loop: Header=BB4_707 Depth=2
	s_or_b64 exec, exec, s[16:17]
	v_cmp_ne_u16_sdwa vcc, v4, v55 src0_sel:BYTE_0 src1_sel:DWORD
	v_mov_b32_e32 v3, 0
	v_mov_b32_e32 v2, 0
	s_and_saveexec_b64 s[16:17], vcc
	s_cbranch_execz .LBB4_1003
; %bb.996:                              ;   in Loop: Header=BB4_707 Depth=2
	v_cmp_ne_u16_sdwa vcc, sext(v4), s63 src0_sel:BYTE_0 src1_sel:DWORD
	v_bfrev_b32_e32 v2, 1
	s_and_saveexec_b64 s[46:47], vcc
	s_cbranch_execz .LBB4_1002
; %bb.997:                              ;   in Loop: Header=BB4_707 Depth=2
	v_and_b32_e32 v2, 0x7c, v4
	v_and_b32_e32 v10, 3, v4
	v_cmp_ne_u32_e32 vcc, s64, v2
                                        ; implicit-def: $vgpr2
	s_and_saveexec_b64 s[48:49], vcc
	s_xor_b64 s[48:49], exec, s[48:49]
	s_cbranch_execz .LBB4_999
; %bb.998:                              ;   in Loop: Header=BB4_707 Depth=2
	v_ffbh_u32_e32 v28, v10
	v_min_u32_e32 v28, 32, v28
	v_bfe_u32 v2, v4, 2, 5
	v_subrev_u32_e32 v31, 29, v28
	v_lshlrev_b64 v[36:37], v31, v[4:5]
	v_sub_u32_e32 v5, 30, v28
	v_cmp_eq_u32_e32 vcc, 0, v2
	v_and_b32_e32 v28, 3, v36
	v_cndmask_b32_e32 v2, v2, v5, vcc
	v_cndmask_b32_e32 v5, v10, v28, vcc
	v_lshlrev_b32_e32 v10, 24, v4
	v_lshl_add_u32 v2, v2, 23, v7
	v_and_or_b32 v2, v10, s65, v2
	v_lshl_or_b32 v2, v5, 21, v2
                                        ; implicit-def: $vgpr10
.LBB4_999:                              ;   in Loop: Header=BB4_707 Depth=2
	s_andn2_saveexec_b64 s[48:49], s[48:49]
; %bb.1000:                             ;   in Loop: Header=BB4_707 Depth=2
	v_cmp_gt_i16_sdwa vcc, sext(v4), v47 src0_sel:BYTE_0 src1_sel:DWORD
	v_cndmask_b32_e32 v2, v24, v25, vcc
	v_cmp_eq_u32_e32 vcc, 0, v10
	v_cndmask_b32_e32 v2, v6, v2, vcc
; %bb.1001:                             ;   in Loop: Header=BB4_707 Depth=2
	s_or_b64 exec, exec, s[48:49]
.LBB4_1002:                             ;   in Loop: Header=BB4_707 Depth=2
	s_or_b64 exec, exec, s[46:47]
.LBB4_1003:                             ;   in Loop: Header=BB4_707 Depth=2
	s_or_b64 exec, exec, s[16:17]
	v_lshlrev_b32_e32 v5, 8, v33
	v_lshlrev_b32_e32 v23, 24, v23
	v_perm_b32 v10, v5, v29, s71
	v_lshl_or_b32 v28, v27, 16, v23
	v_cmp_ne_u16_sdwa vcc, v29, v55 src0_sel:BYTE_0 src1_sel:DWORD
	s_and_saveexec_b64 s[16:17], vcc
	s_cbranch_execz .LBB4_1011
; %bb.1004:                             ;   in Loop: Header=BB4_707 Depth=2
	v_cmp_ne_u16_sdwa vcc, sext(v29), s63 src0_sel:BYTE_0 src1_sel:DWORD
	v_bfrev_b32_e32 v3, 1
	s_and_saveexec_b64 s[46:47], vcc
	s_cbranch_execz .LBB4_1010
; %bb.1005:                             ;   in Loop: Header=BB4_707 Depth=2
	v_and_b32_e32 v3, 0x7c, v29
	v_and_b32_e32 v5, 3, v29
	v_cmp_ne_u32_e32 vcc, s64, v3
                                        ; implicit-def: $vgpr3
	s_and_saveexec_b64 s[48:49], vcc
	s_xor_b64 s[48:49], exec, s[48:49]
	s_cbranch_execz .LBB4_1007
; %bb.1006:                             ;   in Loop: Header=BB4_707 Depth=2
	v_ffbh_u32_e32 v31, v5
	v_bfe_u32 v3, v29, 2, 5
	v_min_u32_e32 v31, 32, v31
	v_or_b32_e32 v36, v28, v10
	v_subrev_u32_e32 v33, 29, v31
	v_sub_u32_e32 v31, 30, v31
	v_cmp_eq_u32_e32 vcc, 0, v3
	v_lshlrev_b64 v[36:37], v33, v[36:37]
	v_cndmask_b32_e32 v3, v3, v31, vcc
	v_and_b32_e32 v33, 3, v36
	v_lshlrev_b32_e32 v29, 24, v29
	v_lshl_add_u32 v3, v3, 23, v7
	v_cndmask_b32_e32 v5, v5, v33, vcc
	v_and_or_b32 v3, v29, s65, v3
	v_lshl_or_b32 v3, v5, 21, v3
                                        ; implicit-def: $vgpr5
                                        ; implicit-def: $vgpr29
.LBB4_1007:                             ;   in Loop: Header=BB4_707 Depth=2
	s_andn2_saveexec_b64 s[48:49], s[48:49]
; %bb.1008:                             ;   in Loop: Header=BB4_707 Depth=2
	v_cmp_gt_i16_sdwa vcc, sext(v29), v47 src0_sel:BYTE_0 src1_sel:DWORD
	v_cndmask_b32_e32 v3, v24, v25, vcc
	v_cmp_eq_u32_e32 vcc, 0, v5
	v_cndmask_b32_e32 v3, v6, v3, vcc
; %bb.1009:                             ;   in Loop: Header=BB4_707 Depth=2
	s_or_b64 exec, exec, s[48:49]
.LBB4_1010:                             ;   in Loop: Header=BB4_707 Depth=2
	s_or_b64 exec, exec, s[46:47]
.LBB4_1011:                             ;   in Loop: Header=BB4_707 Depth=2
	s_or_b64 exec, exec, s[16:17]
	v_add_f32_e32 v2, v2, v3
	v_and_b32_sdwa v29, v2, s66 dst_sel:DWORD dst_unused:UNUSED_PAD src0_sel:BYTE_3 src1_sel:DWORD
	v_and_b32_e32 v36, 0x7f800000, v2
	v_mov_b32_e32 v37, v55
	v_and_b32_e32 v54, 0x7fffff, v2
	v_or_b32_e32 v5, 0x7b, v29
	v_cmp_ne_u64_e32 vcc, s[38:39], v[36:37]
	s_and_saveexec_b64 s[16:17], vcc
	s_xor_b64 s[46:47], exec, s[16:17]
	s_cbranch_execz .LBB4_1021
; %bb.1012:                             ;   in Loop: Header=BB4_707 Depth=2
	v_and_b32_e32 v36, 0x7fffffff, v2
	v_mov_b32_e32 v37, v55
	v_cmp_gt_u64_e32 vcc, s[40:41], v[36:37]
	s_and_saveexec_b64 s[48:49], vcc
	s_cbranch_execz .LBB4_1020
; %bb.1013:                             ;   in Loop: Header=BB4_707 Depth=2
	v_cmp_ne_u32_e32 vcc, 0, v2
	v_mov_b32_e32 v5, 0
	s_and_saveexec_b64 s[50:51], vcc
	s_cbranch_execz .LBB4_1019
; %bb.1014:                             ;   in Loop: Header=BB4_707 Depth=2
	v_bfe_u32 v2, v2, 23, 8
	v_sub_u32_e32 v5, 0x71, v2
	v_cmp_gt_u32_e32 vcc, s67, v2
	v_cndmask_b32_e32 v5, 0, v5, vcc
	v_cmp_eq_u32_e32 vcc, 0, v2
	v_or_b32_e32 v31, 0x800000, v54
	v_cndmask_b32_e32 v5, v5, v49, vcc
	v_add_u32_e32 v3, 0xffffff81, v2
	v_cndmask_b32_e32 v54, v31, v54, vcc
	v_add_u32_e32 v2, 21, v5
	v_cndmask_b32_e32 v33, v3, v48, vcc
	v_lshlrev_b64 v[2:3], v2, -1
	v_add_u32_e32 v31, 20, v5
	v_lshrrev_b64 v[40:41], v5, v[54:55]
	v_not_b32_e32 v3, v3
	v_not_b32_e32 v2, v2
	v_lshlrev_b64 v[36:37], v31, 1
	v_lshrrev_b32_e32 v31, 23, v40
	v_and_b32_e32 v3, 0, v3
	v_and_b32_e32 v2, v54, v2
	v_add3_u32 v33, v5, v33, v31
	v_bfe_u32 v5, v40, 21, 1
	v_add_u32_e32 v5, -1, v5
	v_cmp_eq_u64_e32 vcc, v[2:3], v[36:37]
	v_cndmask_b32_e32 v2, 0, v5, vcc
	v_add_u32_e32 v2, v2, v40
	v_and_b32_e32 v2, 0x1fffff, v2
	v_add_co_u32_e32 v2, vcc, v2, v40
	v_add_u32_e32 v31, 14, v33
	v_addc_co_u32_e32 v3, vcc, 0, v41, vcc
	v_cmp_ne_u32_e32 vcc, 0, v31
                                        ; implicit-def: $vgpr5
	s_and_saveexec_b64 s[16:17], vcc
	s_xor_b64 s[16:17], exec, s[16:17]
; %bb.1015:                             ;   in Loop: Header=BB4_707 Depth=2
	v_add_u32_e32 v5, 15, v33
	v_cmp_lt_u64_e32 vcc, s[42:43], v[2:3]
	v_cndmask_b32_e32 v5, v31, v5, vcc
	v_cndmask_b32_e64 v31, 0, 1, vcc
	v_lshrrev_b64 v[2:3], v31, v[2:3]
; %bb.1016:                             ;   in Loop: Header=BB4_707 Depth=2
	s_andn2_saveexec_b64 s[16:17], s[16:17]
; %bb.1017:                             ;   in Loop: Header=BB4_707 Depth=2
	v_bfe_u32 v5, v2, 23, 1
; %bb.1018:                             ;   in Loop: Header=BB4_707 Depth=2
	s_or_b64 exec, exec, s[16:17]
	v_lshrrev_b64 v[2:3], 21, v[2:3]
	v_cmp_gt_i32_e32 vcc, 32, v5
	v_cndmask_b32_e32 v3, 0, v3, vcc
	v_cndmask_b32_e32 v2, 3, v2, vcc
	v_cmp_eq_u64_e64 s[16:17], 0, v[2:3]
	v_min_i32_e32 v3, 31, v5
	v_cmp_eq_u32_e32 vcc, 0, v5
	v_lshlrev_b32_e32 v3, 2, v3
	v_and_or_b32 v2, v2, 3, v3
	s_and_b64 s[16:17], vcc, s[16:17]
	v_cndmask_b32_e64 v2, v2, 0, s[16:17]
	v_or_b32_e32 v5, v2, v29
.LBB4_1019:                             ;   in Loop: Header=BB4_707 Depth=2
	s_or_b64 exec, exec, s[50:51]
.LBB4_1020:                             ;   in Loop: Header=BB4_707 Depth=2
	s_or_b64 exec, exec, s[48:49]
                                        ; implicit-def: $vgpr2
.LBB4_1021:                             ;   in Loop: Header=BB4_707 Depth=2
	s_andn2_saveexec_b64 s[16:17], s[46:47]
; %bb.1022:                             ;   in Loop: Header=BB4_707 Depth=2
	v_or_b32_sdwa v2, v2, s68 dst_sel:DWORD dst_unused:UNUSED_PAD src0_sel:BYTE_3 src1_sel:DWORD
	v_cmp_eq_u64_e32 vcc, 0, v[54:55]
	v_cndmask_b32_e32 v5, v2, v5, vcc
; %bb.1023:                             ;   in Loop: Header=BB4_707 Depth=2
	s_or_b64 exec, exec, s[16:17]
	v_lshrrev_b16_e32 v54, 8, v4
	v_cmp_ne_u16_e32 vcc, 0, v54
	v_mov_b32_e32 v2, 0
	v_mov_b32_e32 v3, 0
	s_and_saveexec_b64 s[16:17], vcc
	s_cbranch_execz .LBB4_1031
; %bb.1024:                             ;   in Loop: Header=BB4_707 Depth=2
	v_cmp_ne_u16_e32 vcc, s66, v54
	v_bfrev_b32_e32 v3, 1
	s_and_saveexec_b64 s[46:47], vcc
	s_cbranch_execz .LBB4_1030
; %bb.1025:                             ;   in Loop: Header=BB4_707 Depth=2
	v_and_b32_e32 v3, 0x7c, v54
	v_and_b32_e32 v29, 3, v54
	v_cmp_ne_u32_e32 vcc, s64, v3
                                        ; implicit-def: $vgpr3
	s_and_saveexec_b64 s[48:49], vcc
	s_xor_b64 s[48:49], exec, s[48:49]
	s_cbranch_execz .LBB4_1027
; %bb.1026:                             ;   in Loop: Header=BB4_707 Depth=2
	v_ffbh_u32_e32 v31, v29
	v_bfe_u32 v3, v54, 2, 5
	v_min_u32_e32 v31, 32, v31
	v_subrev_u32_e32 v33, 29, v31
	v_sub_u32_e32 v31, 30, v31
	v_cmp_eq_u32_e32 vcc, 0, v3
	v_lshlrev_b64 v[36:37], v33, v[54:55]
	v_cndmask_b32_e32 v3, v3, v31, vcc
	v_and_b32_e32 v33, 3, v36
	v_lshlrev_b32_e32 v31, 16, v4
	v_lshl_add_u32 v3, v3, 23, v7
	v_cndmask_b32_e32 v29, v29, v33, vcc
	v_and_or_b32 v3, v31, s65, v3
	v_lshl_or_b32 v3, v29, 21, v3
                                        ; implicit-def: $vgpr29
.LBB4_1027:                             ;   in Loop: Header=BB4_707 Depth=2
	s_andn2_saveexec_b64 s[48:49], s[48:49]
; %bb.1028:                             ;   in Loop: Header=BB4_707 Depth=2
	v_cmp_lt_i16_e32 vcc, -1, v4
	v_cndmask_b32_e32 v3, v24, v25, vcc
	v_cmp_eq_u32_e32 vcc, 0, v29
	v_cndmask_b32_e32 v3, v6, v3, vcc
; %bb.1029:                             ;   in Loop: Header=BB4_707 Depth=2
	s_or_b64 exec, exec, s[48:49]
.LBB4_1030:                             ;   in Loop: Header=BB4_707 Depth=2
	s_or_b64 exec, exec, s[46:47]
.LBB4_1031:                             ;   in Loop: Header=BB4_707 Depth=2
	s_or_b64 exec, exec, s[16:17]
	v_lshrrev_b16_e32 v54, 8, v10
	v_cmp_ne_u16_e32 vcc, 0, v54
	s_and_saveexec_b64 s[16:17], vcc
	s_cbranch_execz .LBB4_1039
; %bb.1032:                             ;   in Loop: Header=BB4_707 Depth=2
	v_cmp_ne_u16_e32 vcc, s66, v54
	v_bfrev_b32_e32 v2, 1
	s_and_saveexec_b64 s[46:47], vcc
	s_cbranch_execz .LBB4_1038
; %bb.1033:                             ;   in Loop: Header=BB4_707 Depth=2
	v_and_b32_e32 v2, 0x7c, v54
	v_and_b32_e32 v29, 3, v54
	v_cmp_ne_u32_e32 vcc, s64, v2
                                        ; implicit-def: $vgpr2
	s_and_saveexec_b64 s[48:49], vcc
	s_xor_b64 s[48:49], exec, s[48:49]
	s_cbranch_execz .LBB4_1035
; %bb.1034:                             ;   in Loop: Header=BB4_707 Depth=2
	v_ffbh_u32_e32 v31, v29
	v_bfe_u32 v2, v54, 2, 5
	v_min_u32_e32 v31, 32, v31
	v_subrev_u32_e32 v33, 29, v31
	v_sub_u32_e32 v31, 30, v31
	v_cmp_eq_u32_e32 vcc, 0, v2
	v_lshlrev_b64 v[36:37], v33, v[54:55]
	v_cndmask_b32_e32 v2, v2, v31, vcc
	v_and_b32_e32 v33, 3, v36
	v_lshlrev_b32_e32 v10, 16, v10
	v_lshl_add_u32 v2, v2, 23, v7
	v_cndmask_b32_e32 v29, v29, v33, vcc
	v_and_or_b32 v2, v10, s65, v2
	v_lshl_or_b32 v2, v29, 21, v2
                                        ; implicit-def: $vgpr29
                                        ; implicit-def: $vgpr10
.LBB4_1035:                             ;   in Loop: Header=BB4_707 Depth=2
	s_andn2_saveexec_b64 s[48:49], s[48:49]
; %bb.1036:                             ;   in Loop: Header=BB4_707 Depth=2
	v_cmp_lt_i16_e32 vcc, -1, v10
	v_cndmask_b32_e32 v2, v24, v25, vcc
	v_cmp_eq_u32_e32 vcc, 0, v29
	v_cndmask_b32_e32 v2, v6, v2, vcc
; %bb.1037:                             ;   in Loop: Header=BB4_707 Depth=2
	s_or_b64 exec, exec, s[48:49]
.LBB4_1038:                             ;   in Loop: Header=BB4_707 Depth=2
	s_or_b64 exec, exec, s[46:47]
.LBB4_1039:                             ;   in Loop: Header=BB4_707 Depth=2
	s_or_b64 exec, exec, s[16:17]
	v_add_f32_e32 v2, v3, v2
	v_and_b32_sdwa v10, v2, s66 dst_sel:DWORD dst_unused:UNUSED_PAD src0_sel:BYTE_3 src1_sel:DWORD
	v_and_b32_e32 v36, 0x7f800000, v2
	v_mov_b32_e32 v37, v55
	v_and_b32_e32 v54, 0x7fffff, v2
	v_or_b32_e32 v29, 0x7b, v10
	v_cmp_ne_u64_e32 vcc, s[38:39], v[36:37]
	s_and_saveexec_b64 s[16:17], vcc
	s_xor_b64 s[46:47], exec, s[16:17]
	s_cbranch_execz .LBB4_1049
; %bb.1040:                             ;   in Loop: Header=BB4_707 Depth=2
	v_and_b32_e32 v36, 0x7fffffff, v2
	v_mov_b32_e32 v37, v55
	v_cmp_gt_u64_e32 vcc, s[40:41], v[36:37]
	s_and_saveexec_b64 s[48:49], vcc
	s_cbranch_execz .LBB4_1048
; %bb.1041:                             ;   in Loop: Header=BB4_707 Depth=2
	v_cmp_ne_u32_e32 vcc, 0, v2
	v_mov_b32_e32 v29, 0
	s_and_saveexec_b64 s[50:51], vcc
	s_cbranch_execz .LBB4_1047
; %bb.1042:                             ;   in Loop: Header=BB4_707 Depth=2
	v_bfe_u32 v2, v2, 23, 8
	v_sub_u32_e32 v29, 0x71, v2
	v_cmp_gt_u32_e32 vcc, s67, v2
	v_cndmask_b32_e32 v29, 0, v29, vcc
	v_cmp_eq_u32_e32 vcc, 0, v2
	v_or_b32_e32 v31, 0x800000, v54
	v_cndmask_b32_e32 v29, v29, v49, vcc
	v_add_u32_e32 v3, 0xffffff81, v2
	v_cndmask_b32_e32 v54, v31, v54, vcc
	v_add_u32_e32 v2, 21, v29
	v_cndmask_b32_e32 v33, v3, v48, vcc
	v_lshlrev_b64 v[2:3], v2, -1
	v_add_u32_e32 v31, 20, v29
	v_lshrrev_b64 v[40:41], v29, v[54:55]
	v_not_b32_e32 v3, v3
	v_not_b32_e32 v2, v2
	v_lshlrev_b64 v[36:37], v31, 1
	v_lshrrev_b32_e32 v31, 23, v40
	v_and_b32_e32 v3, 0, v3
	v_and_b32_e32 v2, v54, v2
	v_add3_u32 v33, v29, v33, v31
	v_bfe_u32 v29, v40, 21, 1
	v_add_u32_e32 v29, -1, v29
	v_cmp_eq_u64_e32 vcc, v[2:3], v[36:37]
	v_cndmask_b32_e32 v2, 0, v29, vcc
	v_add_u32_e32 v2, v2, v40
	v_and_b32_e32 v2, 0x1fffff, v2
	v_add_co_u32_e32 v2, vcc, v2, v40
	v_add_u32_e32 v31, 14, v33
	v_addc_co_u32_e32 v3, vcc, 0, v41, vcc
	v_cmp_ne_u32_e32 vcc, 0, v31
                                        ; implicit-def: $vgpr29
	s_and_saveexec_b64 s[16:17], vcc
	s_xor_b64 s[16:17], exec, s[16:17]
; %bb.1043:                             ;   in Loop: Header=BB4_707 Depth=2
	v_add_u32_e32 v29, 15, v33
	v_cmp_lt_u64_e32 vcc, s[42:43], v[2:3]
	v_cndmask_b32_e32 v29, v31, v29, vcc
	v_cndmask_b32_e64 v31, 0, 1, vcc
	v_lshrrev_b64 v[2:3], v31, v[2:3]
; %bb.1044:                             ;   in Loop: Header=BB4_707 Depth=2
	s_andn2_saveexec_b64 s[16:17], s[16:17]
; %bb.1045:                             ;   in Loop: Header=BB4_707 Depth=2
	v_bfe_u32 v29, v2, 23, 1
; %bb.1046:                             ;   in Loop: Header=BB4_707 Depth=2
	s_or_b64 exec, exec, s[16:17]
	v_lshrrev_b64 v[2:3], 21, v[2:3]
	v_cmp_gt_i32_e32 vcc, 32, v29
	v_cndmask_b32_e32 v3, 0, v3, vcc
	v_cndmask_b32_e32 v2, 3, v2, vcc
	v_cmp_eq_u64_e64 s[16:17], 0, v[2:3]
	v_min_i32_e32 v3, 31, v29
	v_cmp_eq_u32_e32 vcc, 0, v29
	v_lshlrev_b32_e32 v3, 2, v3
	v_and_or_b32 v2, v2, 3, v3
	s_and_b64 s[16:17], vcc, s[16:17]
	v_cndmask_b32_e64 v2, v2, 0, s[16:17]
	v_or_b32_e32 v29, v2, v10
.LBB4_1047:                             ;   in Loop: Header=BB4_707 Depth=2
	s_or_b64 exec, exec, s[50:51]
.LBB4_1048:                             ;   in Loop: Header=BB4_707 Depth=2
	s_or_b64 exec, exec, s[48:49]
                                        ; implicit-def: $vgpr2
.LBB4_1049:                             ;   in Loop: Header=BB4_707 Depth=2
	s_andn2_saveexec_b64 s[16:17], s[46:47]
; %bb.1050:                             ;   in Loop: Header=BB4_707 Depth=2
	v_or_b32_sdwa v2, v2, s68 dst_sel:DWORD dst_unused:UNUSED_PAD src0_sel:BYTE_3 src1_sel:DWORD
	v_cmp_eq_u64_e32 vcc, 0, v[54:55]
	v_cndmask_b32_e32 v29, v2, v29, vcc
; %bb.1051:                             ;   in Loop: Header=BB4_707 Depth=2
	s_or_b64 exec, exec, s[16:17]
	v_lshrrev_b32_e32 v2, 16, v4
	v_cmp_ne_u16_sdwa vcc, v2, v55 src0_sel:BYTE_0 src1_sel:DWORD
	v_mov_b32_e32 v3, 0
	v_mov_b32_e32 v10, 0
	s_and_saveexec_b64 s[16:17], vcc
	s_cbranch_execz .LBB4_1059
; %bb.1052:                             ;   in Loop: Header=BB4_707 Depth=2
	v_cmp_ne_u16_sdwa vcc, v2, s66 src0_sel:BYTE_0 src1_sel:DWORD
	v_bfrev_b32_e32 v10, 1
	s_and_saveexec_b64 s[46:47], vcc
	s_cbranch_execz .LBB4_1058
; %bb.1053:                             ;   in Loop: Header=BB4_707 Depth=2
	v_and_b32_e32 v10, 0x7c0000, v4
	v_bfe_u32 v31, v4, 16, 2
	v_cmp_ne_u32_e32 vcc, s69, v10
                                        ; implicit-def: $vgpr10
	s_and_saveexec_b64 s[48:49], vcc
	s_xor_b64 s[48:49], exec, s[48:49]
	s_cbranch_execz .LBB4_1055
; %bb.1054:                             ;   in Loop: Header=BB4_707 Depth=2
	v_ffbh_u32_e32 v33, v31
	v_min_u32_e32 v33, 32, v33
	v_bfe_u32 v10, v4, 18, 5
	v_subrev_u32_e32 v36, 29, v33
	v_lshlrev_b64 v[36:37], v36, v[2:3]
	v_sub_u32_e32 v2, 30, v33
	v_cmp_eq_u32_e32 vcc, 0, v10
	v_and_b32_e32 v33, 3, v36
	v_cndmask_b32_e32 v2, v10, v2, vcc
	v_cndmask_b32_e32 v10, v31, v33, vcc
	v_lshlrev_b32_e32 v31, 8, v4
	v_lshl_add_u32 v2, v2, 23, v7
	v_and_or_b32 v2, v31, s65, v2
	v_lshl_or_b32 v10, v10, 21, v2
                                        ; implicit-def: $vgpr31
                                        ; implicit-def: $vgpr2
.LBB4_1055:                             ;   in Loop: Header=BB4_707 Depth=2
	s_andn2_saveexec_b64 s[48:49], s[48:49]
; %bb.1056:                             ;   in Loop: Header=BB4_707 Depth=2
	v_cmp_gt_i16_sdwa vcc, sext(v2), v47 src0_sel:BYTE_0 src1_sel:DWORD
	v_cndmask_b32_e32 v2, v24, v25, vcc
	v_cmp_eq_u32_e32 vcc, 0, v31
	v_cndmask_b32_e32 v10, v6, v2, vcc
; %bb.1057:                             ;   in Loop: Header=BB4_707 Depth=2
	s_or_b64 exec, exec, s[48:49]
.LBB4_1058:                             ;   in Loop: Header=BB4_707 Depth=2
	s_or_b64 exec, exec, s[46:47]
.LBB4_1059:                             ;   in Loop: Header=BB4_707 Depth=2
	s_or_b64 exec, exec, s[16:17]
	v_lshrrev_b32_e32 v2, 16, v28
	v_cmp_ne_u16_sdwa vcc, v2, v55 src0_sel:BYTE_0 src1_sel:DWORD
	s_and_saveexec_b64 s[16:17], vcc
	s_cbranch_execz .LBB4_1067
; %bb.1060:                             ;   in Loop: Header=BB4_707 Depth=2
	v_cmp_ne_u16_sdwa vcc, v2, s66 src0_sel:BYTE_0 src1_sel:DWORD
	v_bfrev_b32_e32 v3, 1
	s_and_saveexec_b64 s[46:47], vcc
	s_cbranch_execz .LBB4_1066
; %bb.1061:                             ;   in Loop: Header=BB4_707 Depth=2
	v_and_b32_e32 v3, 0x7c, v27
	v_bfe_u32 v31, v28, 16, 2
	v_cmp_ne_u32_e32 vcc, s64, v3
                                        ; implicit-def: $vgpr3
	s_and_saveexec_b64 s[48:49], vcc
	s_xor_b64 s[48:49], exec, s[48:49]
	s_cbranch_execz .LBB4_1063
; %bb.1062:                             ;   in Loop: Header=BB4_707 Depth=2
	v_ffbh_u32_e32 v3, v31
	v_min_u32_e32 v36, 32, v3
	v_subrev_u32_e32 v3, 29, v36
	v_bfe_u32 v33, v27, 2, 5
	v_lshlrev_b64 v[2:3], v3, v[2:3]
	v_sub_u32_e32 v3, 30, v36
	v_cmp_eq_u32_e32 vcc, 0, v33
	v_cndmask_b32_e32 v3, v33, v3, vcc
	v_and_b32_e32 v2, 3, v2
	v_lshlrev_b32_e32 v27, 24, v27
	v_lshl_add_u32 v3, v3, 23, v7
	v_cndmask_b32_e32 v2, v31, v2, vcc
	v_and_or_b32 v3, v27, s65, v3
	v_lshl_or_b32 v3, v2, 21, v3
                                        ; implicit-def: $vgpr31
                                        ; implicit-def: $vgpr2
.LBB4_1063:                             ;   in Loop: Header=BB4_707 Depth=2
	s_andn2_saveexec_b64 s[48:49], s[48:49]
; %bb.1064:                             ;   in Loop: Header=BB4_707 Depth=2
	v_cmp_gt_i16_sdwa vcc, sext(v2), v47 src0_sel:BYTE_0 src1_sel:DWORD
	v_cndmask_b32_e32 v2, v24, v25, vcc
	v_cmp_eq_u32_e32 vcc, 0, v31
	v_cndmask_b32_e32 v3, v6, v2, vcc
; %bb.1065:                             ;   in Loop: Header=BB4_707 Depth=2
	s_or_b64 exec, exec, s[48:49]
.LBB4_1066:                             ;   in Loop: Header=BB4_707 Depth=2
	s_or_b64 exec, exec, s[46:47]
.LBB4_1067:                             ;   in Loop: Header=BB4_707 Depth=2
	s_or_b64 exec, exec, s[16:17]
	v_add_f32_e32 v2, v10, v3
	v_and_b32_sdwa v10, v2, s66 dst_sel:DWORD dst_unused:UNUSED_PAD src0_sel:BYTE_3 src1_sel:DWORD
	v_and_b32_e32 v36, 0x7f800000, v2
	v_mov_b32_e32 v37, v55
	v_and_b32_e32 v54, 0x7fffff, v2
	v_or_b32_e32 v27, 0x7b, v10
	v_cmp_ne_u64_e32 vcc, s[38:39], v[36:37]
	s_and_saveexec_b64 s[16:17], vcc
	s_xor_b64 s[46:47], exec, s[16:17]
	s_cbranch_execz .LBB4_1077
; %bb.1068:                             ;   in Loop: Header=BB4_707 Depth=2
	v_and_b32_e32 v36, 0x7fffffff, v2
	v_mov_b32_e32 v37, v55
	v_cmp_gt_u64_e32 vcc, s[40:41], v[36:37]
	s_and_saveexec_b64 s[48:49], vcc
	s_cbranch_execz .LBB4_1076
; %bb.1069:                             ;   in Loop: Header=BB4_707 Depth=2
	v_cmp_ne_u32_e32 vcc, 0, v2
	v_mov_b32_e32 v27, 0
	s_and_saveexec_b64 s[50:51], vcc
	s_cbranch_execz .LBB4_1075
; %bb.1070:                             ;   in Loop: Header=BB4_707 Depth=2
	v_bfe_u32 v2, v2, 23, 8
	v_sub_u32_e32 v27, 0x71, v2
	v_cmp_gt_u32_e32 vcc, s67, v2
	v_cndmask_b32_e32 v27, 0, v27, vcc
	v_cmp_eq_u32_e32 vcc, 0, v2
	v_or_b32_e32 v31, 0x800000, v54
	v_cndmask_b32_e32 v27, v27, v49, vcc
	v_add_u32_e32 v3, 0xffffff81, v2
	v_cndmask_b32_e32 v54, v31, v54, vcc
	v_add_u32_e32 v2, 21, v27
	v_cndmask_b32_e32 v33, v3, v48, vcc
	v_lshlrev_b64 v[2:3], v2, -1
	v_add_u32_e32 v31, 20, v27
	v_lshrrev_b64 v[40:41], v27, v[54:55]
	v_not_b32_e32 v3, v3
	v_not_b32_e32 v2, v2
	v_lshlrev_b64 v[36:37], v31, 1
	v_lshrrev_b32_e32 v31, 23, v40
	v_and_b32_e32 v3, 0, v3
	v_and_b32_e32 v2, v54, v2
	v_add3_u32 v33, v27, v33, v31
	v_bfe_u32 v27, v40, 21, 1
	v_add_u32_e32 v27, -1, v27
	v_cmp_eq_u64_e32 vcc, v[2:3], v[36:37]
	v_cndmask_b32_e32 v2, 0, v27, vcc
	v_add_u32_e32 v2, v2, v40
	v_and_b32_e32 v2, 0x1fffff, v2
	v_add_co_u32_e32 v2, vcc, v2, v40
	v_add_u32_e32 v31, 14, v33
	v_addc_co_u32_e32 v3, vcc, 0, v41, vcc
	v_cmp_ne_u32_e32 vcc, 0, v31
                                        ; implicit-def: $vgpr27
	s_and_saveexec_b64 s[16:17], vcc
	s_xor_b64 s[16:17], exec, s[16:17]
; %bb.1071:                             ;   in Loop: Header=BB4_707 Depth=2
	v_add_u32_e32 v27, 15, v33
	v_cmp_lt_u64_e32 vcc, s[42:43], v[2:3]
	v_cndmask_b32_e32 v27, v31, v27, vcc
	v_cndmask_b32_e64 v31, 0, 1, vcc
	v_lshrrev_b64 v[2:3], v31, v[2:3]
; %bb.1072:                             ;   in Loop: Header=BB4_707 Depth=2
	s_andn2_saveexec_b64 s[16:17], s[16:17]
; %bb.1073:                             ;   in Loop: Header=BB4_707 Depth=2
	v_bfe_u32 v27, v2, 23, 1
; %bb.1074:                             ;   in Loop: Header=BB4_707 Depth=2
	s_or_b64 exec, exec, s[16:17]
	v_lshrrev_b64 v[2:3], 21, v[2:3]
	v_cmp_gt_i32_e32 vcc, 32, v27
	v_cndmask_b32_e32 v3, 0, v3, vcc
	v_cndmask_b32_e32 v2, 3, v2, vcc
	v_cmp_eq_u64_e64 s[16:17], 0, v[2:3]
	v_min_i32_e32 v3, 31, v27
	v_lshlrev_b32_e32 v3, 2, v3
	v_cmp_eq_u32_e32 vcc, 0, v27
	v_and_b32_e32 v3, 0xfc, v3
	v_and_or_b32 v2, v2, 3, v3
	s_and_b64 s[16:17], vcc, s[16:17]
	v_cndmask_b32_e64 v2, v2, 0, s[16:17]
	v_or_b32_e32 v27, v2, v10
.LBB4_1075:                             ;   in Loop: Header=BB4_707 Depth=2
	s_or_b64 exec, exec, s[50:51]
.LBB4_1076:                             ;   in Loop: Header=BB4_707 Depth=2
	s_or_b64 exec, exec, s[48:49]
                                        ; implicit-def: $vgpr2
.LBB4_1077:                             ;   in Loop: Header=BB4_707 Depth=2
	s_andn2_saveexec_b64 s[16:17], s[46:47]
; %bb.1078:                             ;   in Loop: Header=BB4_707 Depth=2
	v_or_b32_sdwa v2, v2, s68 dst_sel:DWORD dst_unused:UNUSED_PAD src0_sel:BYTE_3 src1_sel:DWORD
	v_cmp_eq_u64_e32 vcc, 0, v[54:55]
	v_cndmask_b32_e32 v27, v2, v27, vcc
; %bb.1079:                             ;   in Loop: Header=BB4_707 Depth=2
	s_or_b64 exec, exec, s[16:17]
	v_mov_b32_e32 v2, v55
	v_mov_b32_e32 v3, v4
	v_cmp_lt_u64_e32 vcc, s[36:37], v[2:3]
	v_mov_b32_e32 v31, 0
	v_mov_b32_e32 v33, 0
	s_and_saveexec_b64 s[16:17], vcc
	s_cbranch_execz .LBB4_1087
; %bb.1080:                             ;   in Loop: Header=BB4_707 Depth=2
	v_lshrrev_b32_e32 v10, 24, v4
	v_cmp_ne_u32_e32 vcc, s66, v10
	v_bfrev_b32_e32 v33, 1
	s_and_saveexec_b64 s[46:47], vcc
	s_cbranch_execz .LBB4_1086
; %bb.1081:                             ;   in Loop: Header=BB4_707 Depth=2
	v_and_b32_e32 v33, 0x7c000000, v4
	v_bfe_u32 v36, v4, 24, 2
	v_cmp_ne_u32_e32 vcc, s70, v33
                                        ; implicit-def: $vgpr33
	s_and_saveexec_b64 s[48:49], vcc
	s_xor_b64 s[48:49], exec, s[48:49]
	s_cbranch_execz .LBB4_1083
; %bb.1082:                             ;   in Loop: Header=BB4_707 Depth=2
	v_ffbh_u32_e32 v2, v36
	v_min_u32_e32 v37, 32, v2
	v_subrev_u32_e32 v2, 29, v37
	v_bfe_u32 v33, v4, 26, 5
	v_lshlrev_b64 v[2:3], v2, v[10:11]
	v_sub_u32_e32 v3, 30, v37
	v_cmp_eq_u32_e32 vcc, 0, v33
	v_cndmask_b32_e32 v3, v33, v3, vcc
	v_and_b32_e32 v2, 3, v2
	v_lshl_add_u32 v3, v3, 23, v7
	v_cndmask_b32_e32 v2, v36, v2, vcc
	v_and_or_b32 v3, v4, s65, v3
	v_lshl_or_b32 v33, v2, 21, v3
                                        ; implicit-def: $vgpr36
                                        ; implicit-def: $vgpr2_vgpr3
.LBB4_1083:                             ;   in Loop: Header=BB4_707 Depth=2
	s_andn2_saveexec_b64 s[48:49], s[48:49]
; %bb.1084:                             ;   in Loop: Header=BB4_707 Depth=2
	v_cmp_lt_i64_e32 vcc, -1, v[2:3]
	v_cndmask_b32_e32 v2, v24, v25, vcc
	v_cmp_eq_u32_e32 vcc, 0, v36
	v_cndmask_b32_e32 v33, v6, v2, vcc
; %bb.1085:                             ;   in Loop: Header=BB4_707 Depth=2
	s_or_b64 exec, exec, s[48:49]
.LBB4_1086:                             ;   in Loop: Header=BB4_707 Depth=2
	s_or_b64 exec, exec, s[46:47]
.LBB4_1087:                             ;   in Loop: Header=BB4_707 Depth=2
	s_or_b64 exec, exec, s[16:17]
	v_cmp_lt_u32_e32 vcc, s37, v28
	s_and_saveexec_b64 s[16:17], vcc
	s_cbranch_execz .LBB4_1095
; %bb.1088:                             ;   in Loop: Header=BB4_707 Depth=2
	v_lshrrev_b32_e32 v2, 24, v28
	v_cmp_ne_u32_e32 vcc, s66, v2
	v_bfrev_b32_e32 v31, 1
	s_and_saveexec_b64 s[46:47], vcc
	s_cbranch_execz .LBB4_1094
; %bb.1089:                             ;   in Loop: Header=BB4_707 Depth=2
	v_and_b32_e32 v4, 0x7c000000, v28
	v_bfe_u32 v3, v28, 24, 2
	v_cmp_ne_u32_e32 vcc, s70, v4
                                        ; implicit-def: $vgpr31
	s_and_saveexec_b64 s[48:49], vcc
	s_xor_b64 s[48:49], exec, s[48:49]
	s_cbranch_execz .LBB4_1091
; %bb.1090:                             ;   in Loop: Header=BB4_707 Depth=2
	v_ffbh_u32_e32 v10, v3
	v_min_u32_e32 v10, 32, v10
	v_bfe_u32 v4, v28, 26, 5
	v_subrev_u32_e32 v28, 29, v10
	v_lshlrev_b64 v[36:37], v28, v[2:3]
	v_sub_u32_e32 v2, 30, v10
	v_cmp_eq_u32_e32 vcc, 0, v4
	v_cndmask_b32_e32 v2, v4, v2, vcc
	v_and_b32_e32 v10, 3, v36
	v_lshl_add_u32 v2, v2, 23, v7
	v_cndmask_b32_e32 v3, v3, v10, vcc
	v_and_or_b32 v2, v23, s65, v2
	v_lshl_or_b32 v31, v3, 21, v2
                                        ; implicit-def: $vgpr3
                                        ; implicit-def: $vgpr23
.LBB4_1091:                             ;   in Loop: Header=BB4_707 Depth=2
	s_andn2_saveexec_b64 s[48:49], s[48:49]
; %bb.1092:                             ;   in Loop: Header=BB4_707 Depth=2
	v_cmp_lt_i32_e32 vcc, -1, v23
	v_cndmask_b32_e32 v2, v24, v25, vcc
	v_cmp_eq_u32_e32 vcc, 0, v3
	v_cndmask_b32_e32 v31, v6, v2, vcc
; %bb.1093:                             ;   in Loop: Header=BB4_707 Depth=2
	s_or_b64 exec, exec, s[48:49]
.LBB4_1094:                             ;   in Loop: Header=BB4_707 Depth=2
	s_or_b64 exec, exec, s[46:47]
.LBB4_1095:                             ;   in Loop: Header=BB4_707 Depth=2
	s_or_b64 exec, exec, s[16:17]
	v_add_f32_e32 v3, v33, v31
	v_and_b32_sdwa v4, v3, s66 dst_sel:DWORD dst_unused:UNUSED_PAD src0_sel:BYTE_3 src1_sel:DWORD
	v_and_b32_e32 v36, 0x7f800000, v3
	v_mov_b32_e32 v37, v55
	v_and_b32_e32 v54, 0x7fffff, v3
	v_or_b32_e32 v2, 0x7b, v4
	v_cmp_ne_u64_e32 vcc, s[38:39], v[36:37]
	s_and_saveexec_b64 s[16:17], vcc
	s_xor_b64 s[46:47], exec, s[16:17]
	s_cbranch_execz .LBB4_1105
; %bb.1096:                             ;   in Loop: Header=BB4_707 Depth=2
	v_and_b32_e32 v36, 0x7fffffff, v3
	v_mov_b32_e32 v37, v55
	v_cmp_gt_u64_e32 vcc, s[40:41], v[36:37]
	s_and_saveexec_b64 s[48:49], vcc
	s_cbranch_execz .LBB4_1104
; %bb.1097:                             ;   in Loop: Header=BB4_707 Depth=2
	v_cmp_ne_u32_e32 vcc, 0, v3
	v_mov_b32_e32 v2, 0
	s_and_saveexec_b64 s[50:51], vcc
	s_cbranch_execz .LBB4_1103
; %bb.1098:                             ;   in Loop: Header=BB4_707 Depth=2
	v_bfe_u32 v2, v3, 23, 8
	v_sub_u32_e32 v10, 0x71, v2
	v_cmp_gt_u32_e32 vcc, s67, v2
	v_cndmask_b32_e32 v10, 0, v10, vcc
	v_cmp_eq_u32_e32 vcc, 0, v2
	v_or_b32_e32 v23, 0x800000, v54
	v_cndmask_b32_e32 v10, v10, v49, vcc
	v_add_u32_e32 v3, 0xffffff81, v2
	v_cndmask_b32_e32 v54, v23, v54, vcc
	v_add_u32_e32 v2, 21, v10
	v_cndmask_b32_e32 v28, v3, v48, vcc
	v_lshlrev_b64 v[2:3], v2, -1
	v_add_u32_e32 v23, 20, v10
	v_lshrrev_b64 v[40:41], v10, v[54:55]
	v_not_b32_e32 v3, v3
	v_not_b32_e32 v2, v2
	v_lshlrev_b64 v[36:37], v23, 1
	v_lshrrev_b32_e32 v23, 23, v40
	v_and_b32_e32 v3, 0, v3
	v_and_b32_e32 v2, v54, v2
	v_add3_u32 v28, v10, v28, v23
	v_bfe_u32 v10, v40, 21, 1
	v_add_u32_e32 v10, -1, v10
	v_cmp_eq_u64_e32 vcc, v[2:3], v[36:37]
	v_cndmask_b32_e32 v2, 0, v10, vcc
	v_add_u32_e32 v2, v2, v40
	v_and_b32_e32 v2, 0x1fffff, v2
	v_add_co_u32_e32 v2, vcc, v2, v40
	v_add_u32_e32 v23, 14, v28
	v_addc_co_u32_e32 v3, vcc, 0, v41, vcc
	v_cmp_ne_u32_e32 vcc, 0, v23
                                        ; implicit-def: $vgpr10
	s_and_saveexec_b64 s[16:17], vcc
	s_xor_b64 s[16:17], exec, s[16:17]
; %bb.1099:                             ;   in Loop: Header=BB4_707 Depth=2
	v_add_u32_e32 v10, 15, v28
	v_cmp_lt_u64_e32 vcc, s[42:43], v[2:3]
	v_cndmask_b32_e32 v10, v23, v10, vcc
	v_cndmask_b32_e64 v23, 0, 1, vcc
	v_lshrrev_b64 v[2:3], v23, v[2:3]
; %bb.1100:                             ;   in Loop: Header=BB4_707 Depth=2
	s_andn2_saveexec_b64 s[16:17], s[16:17]
; %bb.1101:                             ;   in Loop: Header=BB4_707 Depth=2
	v_bfe_u32 v10, v2, 23, 1
; %bb.1102:                             ;   in Loop: Header=BB4_707 Depth=2
	s_or_b64 exec, exec, s[16:17]
	v_lshrrev_b64 v[2:3], 21, v[2:3]
	v_cmp_gt_i32_e32 vcc, 32, v10
	v_cndmask_b32_e32 v3, 0, v3, vcc
	v_cndmask_b32_e32 v2, 3, v2, vcc
	v_cmp_eq_u64_e64 s[16:17], 0, v[2:3]
	v_min_i32_e32 v3, 31, v10
	v_lshlrev_b32_e32 v3, 2, v3
	v_cmp_eq_u32_e32 vcc, 0, v10
	v_and_b32_e32 v3, 0xfc, v3
	v_and_or_b32 v2, v2, 3, v3
	s_and_b64 s[16:17], vcc, s[16:17]
	v_cndmask_b32_e64 v2, v2, 0, s[16:17]
	v_or_b32_e32 v2, v2, v4
.LBB4_1103:                             ;   in Loop: Header=BB4_707 Depth=2
	s_or_b64 exec, exec, s[50:51]
.LBB4_1104:                             ;   in Loop: Header=BB4_707 Depth=2
	s_or_b64 exec, exec, s[48:49]
                                        ; implicit-def: $vgpr3
.LBB4_1105:                             ;   in Loop: Header=BB4_707 Depth=2
	s_andn2_saveexec_b64 s[16:17], s[46:47]
; %bb.1106:                             ;   in Loop: Header=BB4_707 Depth=2
	v_or_b32_sdwa v3, v3, s68 dst_sel:DWORD dst_unused:UNUSED_PAD src0_sel:BYTE_3 src1_sel:DWORD
	v_cmp_eq_u64_e32 vcc, 0, v[54:55]
	v_cndmask_b32_e32 v2, v3, v2, vcc
; %bb.1107:                             ;   in Loop: Header=BB4_707 Depth=2
	s_or_b64 exec, exec, s[16:17]
	v_lshlrev_b32_e32 v3, 8, v29
	v_lshlrev_b32_e32 v2, 24, v2
	;; [unrolled: 1-line block ×3, first 2 shown]
	v_perm_b32 v3, v3, v5, s71
	v_cmp_lt_u32_e32 vcc, 7, v46
	v_or3_b32 v3, v2, v3, v4
	v_cndmask_b32_e64 v2, 0, 1, vcc
	;;#ASMSTART
	;;#ASMEND
	v_cmp_ne_u32_e64 s[16:17], 0, v2
	s_cmp_lg_u64 s[16:17], exec
	s_mov_b64 s[16:17], -1
	s_cbranch_scc0 .LBB4_1117
; %bb.1108:                             ;   in Loop: Header=BB4_707 Depth=2
	v_cmp_ne_u32_e64 s[16:17], 1, v46
	flat_store_byte v[0:1], v21
	s_and_saveexec_b64 s[46:47], s[16:17]
	s_cbranch_execnz .LBB4_1119
; %bb.1109:                             ;   in Loop: Header=BB4_707 Depth=2
	s_or_b64 exec, exec, s[46:47]
	v_cmp_lt_u32_e64 s[16:17], 2, v46
	s_and_saveexec_b64 s[46:47], s[16:17]
	s_cbranch_execnz .LBB4_1120
.LBB4_1110:                             ;   in Loop: Header=BB4_707 Depth=2
	s_or_b64 exec, exec, s[46:47]
	v_cmp_lt_u32_e64 s[16:17], 3, v46
	s_and_saveexec_b64 s[46:47], s[16:17]
	s_cbranch_execnz .LBB4_1121
.LBB4_1111:                             ;   in Loop: Header=BB4_707 Depth=2
	s_or_b64 exec, exec, s[46:47]
	v_cmp_lt_u32_e64 s[16:17], 4, v46
	s_and_saveexec_b64 s[46:47], s[16:17]
	s_cbranch_execnz .LBB4_1122
.LBB4_1112:                             ;   in Loop: Header=BB4_707 Depth=2
	s_or_b64 exec, exec, s[46:47]
	v_cmp_lt_u32_e64 s[16:17], 5, v46
	s_and_saveexec_b64 s[46:47], s[16:17]
	s_cbranch_execnz .LBB4_1123
.LBB4_1113:                             ;   in Loop: Header=BB4_707 Depth=2
	s_or_b64 exec, exec, s[46:47]
	v_cmp_lt_u32_e64 s[16:17], 6, v46
	s_and_saveexec_b64 s[46:47], s[16:17]
	s_cbranch_execnz .LBB4_1124
.LBB4_1114:                             ;   in Loop: Header=BB4_707 Depth=2
	s_or_b64 exec, exec, s[46:47]
	s_and_saveexec_b64 s[16:17], vcc
	s_cbranch_execz .LBB4_1116
.LBB4_1115:                             ;   in Loop: Header=BB4_707 Depth=2
	v_lshrrev_b32_e32 v2, 24, v3
	flat_store_byte v[0:1], v2 offset:7
.LBB4_1116:                             ;   in Loop: Header=BB4_707 Depth=2
	s_or_b64 exec, exec, s[16:17]
	s_mov_b64 s[16:17], 0
.LBB4_1117:                             ;   in Loop: Header=BB4_707 Depth=2
	s_and_b64 vcc, exec, s[16:17]
	s_cbranch_vccz .LBB4_706
; %bb.1118:                             ;   in Loop: Header=BB4_707 Depth=2
	v_perm_b32 v4, v22, v11, s72
	v_lshlrev_b32_e32 v2, 8, v32
	v_perm_b32 v4, v4, v21, s75
	v_and_or_b32 v2, v2, s73, v4
	global_store_dwordx2 v[0:1], v[2:3], off
	s_branch .LBB4_706
.LBB4_1119:                             ;   in Loop: Header=BB4_707 Depth=2
	flat_store_byte v[0:1], v32 offset:1
	s_or_b64 exec, exec, s[46:47]
	v_cmp_lt_u32_e64 s[16:17], 2, v46
	s_and_saveexec_b64 s[46:47], s[16:17]
	s_cbranch_execz .LBB4_1110
.LBB4_1120:                             ;   in Loop: Header=BB4_707 Depth=2
	flat_store_byte v[0:1], v11 offset:2
	s_or_b64 exec, exec, s[46:47]
	v_cmp_lt_u32_e64 s[16:17], 3, v46
	s_and_saveexec_b64 s[46:47], s[16:17]
	s_cbranch_execz .LBB4_1111
.LBB4_1121:                             ;   in Loop: Header=BB4_707 Depth=2
	flat_store_byte v[0:1], v22 offset:3
	s_or_b64 exec, exec, s[46:47]
	v_cmp_lt_u32_e64 s[16:17], 4, v46
	s_and_saveexec_b64 s[46:47], s[16:17]
	s_cbranch_execz .LBB4_1112
.LBB4_1122:                             ;   in Loop: Header=BB4_707 Depth=2
	flat_store_byte v[0:1], v5 offset:4
	s_or_b64 exec, exec, s[46:47]
	v_cmp_lt_u32_e64 s[16:17], 5, v46
	s_and_saveexec_b64 s[46:47], s[16:17]
	s_cbranch_execz .LBB4_1113
.LBB4_1123:                             ;   in Loop: Header=BB4_707 Depth=2
	flat_store_byte v[0:1], v29 offset:5
	s_or_b64 exec, exec, s[46:47]
	v_cmp_lt_u32_e64 s[16:17], 6, v46
	s_and_saveexec_b64 s[46:47], s[16:17]
	s_cbranch_execz .LBB4_1114
.LBB4_1124:                             ;   in Loop: Header=BB4_707 Depth=2
	flat_store_byte v[0:1], v27 offset:6
	s_or_b64 exec, exec, s[46:47]
	s_and_saveexec_b64 s[16:17], vcc
	s_cbranch_execnz .LBB4_1115
	s_branch .LBB4_1116
.LBB4_1125:                             ;   in Loop: Header=BB4_29 Depth=1
	s_or_b64 exec, exec, s[44:45]
	v_accvgpr_read_b32 v51, a11
	v_accvgpr_read_b32 v8, a30
	;; [unrolled: 1-line block ×6, first 2 shown]
.LBB4_1126:                             ;   in Loop: Header=BB4_29 Depth=1
	s_or_b64 exec, exec, s[18:19]
	v_accvgpr_read_b32 v4, a4
	v_accvgpr_read_b32 v5, a5
	s_and_saveexec_b64 s[16:17], s[10:11]
	s_cbranch_execz .LBB4_1145
; %bb.1127:                             ;   in Loop: Header=BB4_29 Depth=1
	s_and_saveexec_b64 s[18:19], s[28:29]
	s_xor_b64 s[18:19], exec, s[18:19]
	s_cbranch_execz .LBB4_1142
; %bb.1128:                             ;   in Loop: Header=BB4_29 Depth=1
	s_and_saveexec_b64 s[44:45], s[12:13]
	s_cbranch_execz .LBB4_1141
; %bb.1129:                             ;   in Loop: Header=BB4_29 Depth=1
	s_mov_b64 s[48:49], exec
	v_mbcnt_lo_u32_b32 v0, s48, 0
	v_mbcnt_hi_u32_b32 v0, s49, v0
	v_cmp_eq_u32_e32 vcc, 0, v0
	s_waitcnt vmcnt(0) lgkmcnt(0)
	buffer_wbinvl1_vol
	s_and_saveexec_b64 s[46:47], vcc
	s_cbranch_execz .LBB4_1131
; %bb.1130:                             ;   in Loop: Header=BB4_29 Depth=1
	s_bcnt1_i32_b64 vcc_lo, s[48:49]
	v_mov_b32_e32 v54, vcc_lo
	ds_add_u64 v0, v[54:55]
	s_trap 2
.LBB4_1131:                             ;   in Loop: Header=BB4_29 Depth=1
	s_or_b64 exec, exec, s[46:47]
	s_trap 2
	ds_read_b64 v[0:1], v0
	v_accvgpr_read_b32 v2, a36
	v_add_co_u32_e32 v42, vcc, v42, v2
	v_accvgpr_read_b32 v3, a47
	v_addc_co_u32_e32 v43, vcc, v43, v3, vcc
	s_waitcnt lgkmcnt(0)
	v_cmp_lt_u64_e32 vcc, v[0:1], v[42:43]
	s_and_saveexec_b64 s[46:47], vcc
	s_cbranch_execz .LBB4_1140
; %bb.1132:                             ;   in Loop: Header=BB4_29 Depth=1
	s_mov_b32 s58, 0
	s_mov_b64 s[48:49], 0
                                        ; implicit-def: $sgpr50_sgpr51
                                        ; implicit-def: $sgpr52_sgpr53
	s_branch .LBB4_1134
.LBB4_1133:                             ;   in Loop: Header=BB4_1134 Depth=2
	s_or_b64 exec, exec, s[56:57]
	s_and_b64 vcc, exec, vcc
	s_or_b64 s[48:49], vcc, s[48:49]
	s_andn2_b64 vcc, s[50:51], exec
	s_and_b64 s[50:51], s[52:53], exec
	s_or_b64 s[50:51], vcc, s[50:51]
	s_andn2_b64 exec, exec, s[48:49]
	s_cbranch_execz .LBB4_1138
.LBB4_1134:                             ;   Parent Loop BB4_29 Depth=1
                                        ; =>  This Inner Loop Header: Depth=2
	s_add_i32 s58, s58, 1
	s_cmpk_lg_i32 s58, 0x2710
	s_cselect_b64 s[54:55], -1, 0
	s_and_b64 vcc, exec, s[54:55]
                                        ; implicit-def: $sgpr56_sgpr57
	s_cbranch_vccnz .LBB4_1136
; %bb.1135:                             ;   in Loop: Header=BB4_1134 Depth=2
	s_trap 2
	ds_read_b64 v[0:1], v0
	s_andn2_b64 s[54:55], s[54:55], exec
	s_mov_b32 s58, 0
	s_mov_b64 s[56:57], -1
	s_waitcnt lgkmcnt(0)
	flat_load_dword v0, v[0:1] glc
	s_waitcnt vmcnt(0) lgkmcnt(0)
	buffer_invl2
	buffer_wbinvl1_vol
	v_cmp_eq_u32_e32 vcc, 0, v0
	s_and_b64 vcc, vcc, exec
	s_or_b64 s[54:55], s[54:55], vcc
.LBB4_1136:                             ;   in Loop: Header=BB4_1134 Depth=2
	s_andn2_b64 s[52:53], s[52:53], exec
	s_and_b64 s[56:57], s[56:57], exec
	s_mov_b64 vcc, -1
	s_or_b64 s[52:53], s[52:53], s[56:57]
	s_and_saveexec_b64 s[56:57], s[54:55]
	s_cbranch_execz .LBB4_1133
; %bb.1137:                             ;   in Loop: Header=BB4_1134 Depth=2
	s_sleep 1
	s_trap 2
	ds_read_b64 v[0:1], v0
	s_andn2_b64 s[52:53], s[52:53], exec
	s_waitcnt lgkmcnt(0)
	v_cmp_ge_u64_e32 vcc, v[0:1], v[42:43]
	s_orn2_b64 vcc, vcc, exec
	s_branch .LBB4_1133
.LBB4_1138:                             ;   in Loop: Header=BB4_29 Depth=1
	s_or_b64 exec, exec, s[48:49]
	s_and_saveexec_b64 vcc, s[50:51]
	s_xor_b64 vcc, exec, vcc
	s_cbranch_execz .LBB4_1140
; %bb.1139:                             ;   in Loop: Header=BB4_29 Depth=1
	v_mov_b32_e32 v0, 1
	ds_write_b32 v0, v0
	s_trap 2
.LBB4_1140:                             ;   in Loop: Header=BB4_29 Depth=1
	s_or_b64 exec, exec, s[46:47]
	;;#ASMSTART
	s_wakeup
	;;#ASMEND
.LBB4_1141:                             ;   in Loop: Header=BB4_29 Depth=1
	s_or_b64 exec, exec, s[44:45]
.LBB4_1142:                             ;   in Loop: Header=BB4_29 Depth=1
	s_andn2_saveexec_b64 s[18:19], s[18:19]
	s_cbranch_execz .LBB4_1144
; %bb.1143:                             ;   in Loop: Header=BB4_29 Depth=1
	s_waitcnt vmcnt(0) lgkmcnt(0)
	buffer_wbinvl1_vol
	s_barrier
.LBB4_1144:                             ;   in Loop: Header=BB4_29 Depth=1
	s_or_b64 exec, exec, s[18:19]
.LBB4_1145:                             ;   in Loop: Header=BB4_29 Depth=1
	s_or_b64 exec, exec, s[16:17]
	s_and_saveexec_b64 s[16:17], s[14:15]
	s_cbranch_execz .LBB4_28
; %bb.1146:                             ;   in Loop: Header=BB4_29 Depth=1
	v_accvgpr_read_b32 v0, a26
	v_accvgpr_read_b32 v1, a27
	v_add_co_u32_e32 v0, vcc, 1, v0
	v_addc_co_u32_e32 v1, vcc, 0, v1, vcc
	v_accvgpr_write_b32 a27, v1
	s_waitcnt vmcnt(0) lgkmcnt(0)
	v_accvgpr_read_b32 v2, a28
	v_accvgpr_write_b32 a26, v0
	v_accvgpr_read_b32 v3, a29
	flat_store_dwordx2 v[2:3], v[0:1]
	s_branch .LBB4_28
.LBB4_1147:
	s_or_b64 exec, exec, s[26:27]
	v_accvgpr_read_b32 v23, a15
	v_accvgpr_read_b32 v25, a17
	;; [unrolled: 1-line block ×6, first 2 shown]
.LBB4_1148:
	s_or_b64 exec, exec, s[24:25]
; %bb.1149:
	s_and_saveexec_b64 s[6:7], s[22:23]
	s_cbranch_execnz .LBB4_1152
; %bb.1150:
	s_or_b64 exec, exec, s[6:7]
	s_and_saveexec_b64 s[6:7], s[4:5]
	s_cbranch_execnz .LBB4_1153
.LBB4_1151:
	s_or_b64 exec, exec, s[6:7]
	v_cmp_ne_u32_e32 vcc, 64, v20
	s_and_saveexec_b64 s[4:5], vcc
	s_cbranch_execnz .LBB4_1154
	s_branch .LBB4_1171
.LBB4_1152:
	s_waitcnt vmcnt(0) lgkmcnt(0)
	flat_store_dwordx2 v[24:25], a[26:27] offset:104
	s_or_b64 exec, exec, s[6:7]
	s_and_saveexec_b64 s[6:7], s[4:5]
	s_cbranch_execz .LBB4_1151
.LBB4_1153:
	s_waitcnt vmcnt(0) lgkmcnt(0)
	flat_store_dwordx2 v[22:23], a[22:23] offset:104
	s_or_b64 exec, exec, s[6:7]
	v_cmp_ne_u32_e32 vcc, 64, v20
	s_and_saveexec_b64 s[4:5], vcc
	s_cbranch_execz .LBB4_1171
.LBB4_1154:
	s_waitcnt vmcnt(0)
	v_cmp_ne_u32_sdwa s[6:7], v9, v20 src0_sel:WORD_0 src1_sel:DWORD
	s_and_saveexec_b64 s[8:9], s[6:7]
	s_xor_b64 s[6:7], exec, s[8:9]
	s_cbranch_execz .LBB4_1169
; %bb.1155:
	v_and_b32_e32 v0, 63, v31
	v_cmp_eq_u32_e32 vcc, 0, v0
	s_and_saveexec_b64 s[8:9], vcc
	s_cbranch_execz .LBB4_1168
; %bb.1156:
	s_mov_b64 s[12:13], exec
	v_mbcnt_lo_u32_b32 v0, s12, 0
	v_mbcnt_hi_u32_b32 v0, s13, v0
	v_cmp_eq_u32_e32 vcc, 0, v0
	s_waitcnt lgkmcnt(0)
	buffer_wbinvl1_vol
	s_and_saveexec_b64 s[10:11], vcc
	s_cbranch_execz .LBB4_1158
; %bb.1157:
	s_bcnt1_i32_b64 s12, s[12:13]
	v_mov_b32_e32 v0, s12
	v_mov_b32_e32 v1, 0
	ds_add_u64 v0, v[0:1]
	s_trap 2
.LBB4_1158:
	s_or_b64 exec, exec, s[10:11]
	v_ashrrev_i32_e32 v0, 31, v20
	v_lshrrev_b32_e32 v0, 26, v0
	v_add_u32_e32 v0, v20, v0
	v_ashrrev_i32_e32 v0, 6, v0
	s_trap 2
	ds_read_b64 v[2:3], v0
	v_ashrrev_i32_e32 v1, 31, v0
	v_add_co_u32_e32 v0, vcc, v42, v0
	v_addc_co_u32_e32 v1, vcc, v43, v1, vcc
	s_waitcnt lgkmcnt(0)
	v_cmp_lt_u64_e32 vcc, v[2:3], v[0:1]
	s_and_saveexec_b64 s[10:11], vcc
	s_cbranch_execz .LBB4_1167
; %bb.1159:
	s_mov_b32 s24, 0
	s_mov_b64 s[12:13], 0
                                        ; implicit-def: $sgpr14_sgpr15
                                        ; implicit-def: $sgpr16_sgpr17
	s_branch .LBB4_1161
.LBB4_1160:                             ;   in Loop: Header=BB4_1161 Depth=1
	s_or_b64 exec, exec, s[22:23]
	s_and_b64 s[18:19], exec, s[20:21]
	s_or_b64 s[12:13], s[18:19], s[12:13]
	s_andn2_b64 s[14:15], s[14:15], exec
	s_and_b64 s[18:19], s[16:17], exec
	s_or_b64 s[14:15], s[14:15], s[18:19]
	s_andn2_b64 exec, exec, s[12:13]
	s_cbranch_execz .LBB4_1165
.LBB4_1161:                             ; =>This Inner Loop Header: Depth=1
	s_add_i32 s24, s24, 1
	s_cmpk_lg_i32 s24, 0x2710
	s_cselect_b64 s[18:19], -1, 0
	s_and_b64 vcc, exec, s[18:19]
                                        ; implicit-def: $sgpr22_sgpr23
	s_cbranch_vccnz .LBB4_1163
; %bb.1162:                             ;   in Loop: Header=BB4_1161 Depth=1
	s_trap 2
	ds_read_b64 v[2:3], v0
	s_andn2_b64 s[18:19], s[18:19], exec
	s_mov_b32 s24, 0
	s_mov_b64 s[22:23], -1
	s_waitcnt lgkmcnt(0)
	flat_load_dword v2, v[2:3] glc
	s_waitcnt vmcnt(0) lgkmcnt(0)
	buffer_invl2
	buffer_wbinvl1_vol
	v_cmp_eq_u32_e32 vcc, 0, v2
	s_and_b64 s[20:21], vcc, exec
	s_or_b64 s[18:19], s[18:19], s[20:21]
.LBB4_1163:                             ;   in Loop: Header=BB4_1161 Depth=1
	s_andn2_b64 s[16:17], s[16:17], exec
	s_and_b64 s[22:23], s[22:23], exec
	s_mov_b64 s[20:21], -1
	s_or_b64 s[16:17], s[16:17], s[22:23]
	s_and_saveexec_b64 s[22:23], s[18:19]
	s_cbranch_execz .LBB4_1160
; %bb.1164:                             ;   in Loop: Header=BB4_1161 Depth=1
	s_sleep 1
	s_trap 2
	ds_read_b64 v[2:3], v0
	s_andn2_b64 s[16:17], s[16:17], exec
	s_waitcnt lgkmcnt(0)
	v_cmp_ge_u64_e32 vcc, v[2:3], v[0:1]
	s_orn2_b64 s[20:21], vcc, exec
	s_branch .LBB4_1160
.LBB4_1165:
	s_or_b64 exec, exec, s[12:13]
	s_and_saveexec_b64 s[12:13], s[14:15]
	s_xor_b64 s[12:13], exec, s[12:13]
	s_cbranch_execz .LBB4_1167
; %bb.1166:
	v_mov_b32_e32 v0, 1
	ds_write_b32 v0, v0
	s_trap 2
.LBB4_1167:
	s_or_b64 exec, exec, s[10:11]
	;;#ASMSTART
	s_wakeup
	;;#ASMEND
.LBB4_1168:
	s_or_b64 exec, exec, s[8:9]
.LBB4_1169:
	s_andn2_saveexec_b64 s[6:7], s[6:7]
	s_cbranch_execz .LBB4_1171
; %bb.1170:
	s_waitcnt lgkmcnt(0)
	buffer_wbinvl1_vol
	s_barrier
.LBB4_1171:
	s_or_b64 exec, exec, s[4:5]
	buffer_load_dword a55, off, s[0:3], s32 ; 4-byte Folded Reload
	buffer_load_dword a54, off, s[0:3], s32 offset:4 ; 4-byte Folded Reload
	buffer_load_dword a52, off, s[0:3], s32 offset:8 ; 4-byte Folded Reload
	;; [unrolled: 1-line block ×37, first 2 shown]
	v_readlane_b32 s30, v63, 44
	v_readlane_b32 s31, v63, 45
	;; [unrolled: 1-line block ×46, first 2 shown]
	s_or_saveexec_b64 s[4:5], -1
	buffer_load_dword v63, off, s[0:3], s32 offset:152 ; 4-byte Folded Reload
	s_mov_b64 exec, s[4:5]
	s_waitcnt vmcnt(0) lgkmcnt(0)
	s_setpc_b64 s[30:31]
.Lfunc_end4:
	.size	_ZN12_GLOBAL__N_17runRingI14__hip_fp8_e5m213FuncPreMulSumIS1_E7ProtoLLLi0ELi4ELi0EEEviiP15ncclDevWorkColl, .Lfunc_end4-_ZN12_GLOBAL__N_17runRingI14__hip_fp8_e5m213FuncPreMulSumIS1_E7ProtoLLLi0ELi4ELi0EEEviiP15ncclDevWorkColl
                                        ; -- End function
	.section	.AMDGPU.csdata,"",@progbits
; Function info:
; codeLenInByte = 36792
; NumSgprs: 82
; NumVgprs: 64
; NumAgprs: 56
; TotalNumVgprs: 120
; ScratchSize: 160
; MemoryBound: 0
	.text
	.p2align	2                               ; -- Begin function _Z56ncclDevFunc_ReduceScatter_RING_LL_PreMulSum_f8e5m2_0_0_4v
	.type	_Z56ncclDevFunc_ReduceScatter_RING_LL_PreMulSum_f8e5m2_0_0_4v,@function
_Z56ncclDevFunc_ReduceScatter_RING_LL_PreMulSum_f8e5m2_0_0_4v: ; @_Z56ncclDevFunc_ReduceScatter_RING_LL_PreMulSum_f8e5m2_0_0_4v
; %bb.0:
	s_waitcnt vmcnt(0) expcnt(0) lgkmcnt(0)
	s_mov_b32 s4, s33
	s_mov_b32 s33, s32
	s_or_saveexec_b64 s[6:7], -1
	buffer_store_dword v43, off, s[0:3], s33 offset:16 ; 4-byte Folded Spill
	s_mov_b64 exec, s[6:7]
	v_writelane_b32 v43, s4, 54
	s_addk_i32 s32, 0x800
	buffer_store_dword v40, off, s[0:3], s33 offset:12 ; 4-byte Folded Spill
	buffer_store_dword v41, off, s[0:3], s33 offset:8 ; 4-byte Folded Spill
	;; [unrolled: 1-line block ×3, first 2 shown]
	buffer_store_dword v63, off, s[0:3], s33 ; 4-byte Folded Spill
	v_writelane_b32 v43, s34, 0
	v_writelane_b32 v43, s35, 1
	;; [unrolled: 1-line block ×54, first 2 shown]
	s_trap 2
	ds_read_b32 v0, v0
	v_mov_b32_e32 v40, v31
	v_and_b32_e32 v41, 0x3ff, v40
	s_mov_b32 s80, s12
	s_mov_b64 s[78:79], s[8:9]
	s_waitcnt lgkmcnt(0)
	v_cmp_lt_i32_e32 vcc, v41, v0
	s_and_saveexec_b64 s[4:5], vcc
	s_cbranch_execz .LBB5_5
; %bb.1:
	s_load_dword s6, s[78:79], 0x0
	v_mov_b32_e32 v1, 0
	s_mov_b32 s10, 0
	v_mov_b32_e32 v4, v41
                                        ; implicit-def: $vgpr2
	s_waitcnt lgkmcnt(0)
	s_cmp_lt_u32 s80, s6
	s_cselect_b32 s6, 12, 18
	s_add_u32 s6, s78, s6
	s_addc_u32 s7, s79, 0
	global_load_ushort v1, v1, s[6:7]
	s_trap 2
	ds_read_b32 v3, v0
	s_mov_b64 s[6:7], 0
	s_waitcnt vmcnt(0) lgkmcnt(0)
	v_mul_lo_u32 v3, v3, v1
	s_branch .LBB5_3
.LBB5_2:                                ;   in Loop: Header=BB5_3 Depth=1
	s_or_b64 exec, exec, s[8:9]
	v_add_u32_e32 v4, v4, v1
	v_cmp_ge_i32_e32 vcc, v4, v0
	s_or_b64 s[6:7], vcc, s[6:7]
	v_add_u32_e32 v2, v2, v3
	s_andn2_b64 exec, exec, s[6:7]
	s_cbranch_execz .LBB5_5
.LBB5_3:                                ; =>This Inner Loop Header: Depth=1
	ds_read_b32 v5, v2
	s_waitcnt lgkmcnt(0)
	v_and_b32_e32 v5, 0x1000000, v5
	v_cmp_ne_u32_e32 vcc, 0, v5
	s_and_saveexec_b64 s[8:9], vcc
	s_cbranch_execz .LBB5_2
; %bb.4:                                ;   in Loop: Header=BB5_3 Depth=1
	ds_read_b64 v[6:7], v2 offset:104
	s_waitcnt lgkmcnt(0)
	flat_load_ubyte v5, v[6:7]
	v_mov_b32_e32 v7, s10
	s_waitcnt vmcnt(0) lgkmcnt(0)
	v_and_b32_e32 v6, 0xffff, v5
	ds_write_b64 v2, v[6:7] offset:104
	s_branch .LBB5_2
.LBB5_5:
	s_or_b64 exec, exec, s[4:5]
	s_waitcnt lgkmcnt(0)
	s_barrier
	s_trap 2
	ds_read_b32 v0, v0
	s_waitcnt lgkmcnt(0)
	v_cmp_gt_i32_e32 vcc, 1, v0
	s_cbranch_vccnz .LBB5_13
; %bb.6:
	s_mov_b32 s81, 0
	s_mov_b64 s[82:83], src_shared_base
	v_mov_b32_e32 v42, 6
	s_branch .LBB5_8
.LBB5_7:                                ;   in Loop: Header=BB5_8 Depth=1
	s_or_b64 exec, exec, s[84:85]
	s_trap 2
	ds_read_b32 v0, v0
	s_add_i32 s81, s81, 1
	s_waitcnt lgkmcnt(0)
	v_cmp_lt_i32_e32 vcc, s81, v0
	s_cbranch_vccz .LBB5_13
.LBB5_8:                                ; =>This Inner Loop Header: Depth=1
	s_trap 2
	ds_read_b32 v0, v0
	s_cmp_eq_u32 s81, 0
	s_cbranch_scc1 .LBB5_11
; %bb.9:                                ;   in Loop: Header=BB5_8 Depth=1
	s_trap 2
	s_waitcnt lgkmcnt(0)
	ds_read_b32 v1, v0
	s_waitcnt lgkmcnt(0)
	v_xor_b32_e32 v1, v1, v0
	v_and_b32_e32 v1, 0xff0000, v1
	v_cmp_eq_u32_e32 vcc, 0, v1
	s_cbranch_vccnz .LBB5_11
; %bb.10:                               ;   in Loop: Header=BB5_8 Depth=1
	s_barrier
	ds_read_b32 v0, v0
.LBB5_11:                               ;   in Loop: Header=BB5_8 Depth=1
	s_waitcnt lgkmcnt(0)
	v_lshlrev_b32_sdwa v1, v42, v0 dst_sel:DWORD dst_unused:UNUSED_PAD src0_sel:DWORD src1_sel:BYTE_2
	v_cmp_lt_u32_e32 vcc, v41, v1
	s_and_saveexec_b64 s[84:85], vcc
	s_cbranch_execz .LBB5_7
; %bb.12:                               ;   in Loop: Header=BB5_8 Depth=1
	s_mov_b64 s[8:9], s[78:79]
	s_mov_b32 s12, s80
	v_mov_b32_e32 v31, v40
	v_mov_b32_e32 v0, v41
	v_mov_b32_e32 v3, s83
	s_getpc_b64 s[4:5]
	s_add_u32 s4, s4, _ZN12_GLOBAL__N_17runRingI14__hip_fp8_e5m213FuncPreMulSumIS1_E7ProtoLLLi0ELi4ELi0EEEviiP15ncclDevWorkColl@rel32@lo+4
	s_addc_u32 s5, s5, _ZN12_GLOBAL__N_17runRingI14__hip_fp8_e5m213FuncPreMulSumIS1_E7ProtoLLLi0ELi4ELi0EEEviiP15ncclDevWorkColl@rel32@hi+12
	s_swappc_b64 s[30:31], s[4:5]
	s_branch .LBB5_7
.LBB5_13:
	buffer_load_dword v63, off, s[0:3], s33 ; 4-byte Folded Reload
	buffer_load_dword v42, off, s[0:3], s33 offset:4 ; 4-byte Folded Reload
	buffer_load_dword v41, off, s[0:3], s33 offset:8 ; 4-byte Folded Reload
	buffer_load_dword v40, off, s[0:3], s33 offset:12 ; 4-byte Folded Reload
	v_readlane_b32 s30, v43, 52
	v_readlane_b32 s31, v43, 53
	;; [unrolled: 1-line block ×55, first 2 shown]
	s_or_saveexec_b64 s[6:7], -1
	buffer_load_dword v43, off, s[0:3], s33 offset:16 ; 4-byte Folded Reload
	s_mov_b64 exec, s[6:7]
	s_addk_i32 s32, 0xf800
	s_mov_b32 s33, s4
	s_waitcnt vmcnt(0)
	s_setpc_b64 s[30:31]
.Lfunc_end5:
	.size	_Z56ncclDevFunc_ReduceScatter_RING_LL_PreMulSum_f8e5m2_0_0_4v, .Lfunc_end5-_Z56ncclDevFunc_ReduceScatter_RING_LL_PreMulSum_f8e5m2_0_0_4v
                                        ; -- End function
	.section	.AMDGPU.csdata,"",@progbits
; Function info:
; codeLenInByte = 1472
; NumSgprs: 90
; NumVgprs: 64
; NumAgprs: 56
; TotalNumVgprs: 120
; ScratchSize: 192
; MemoryBound: 0
	.text
	.p2alignl 6, 3212836864
	.fill 256, 4, 3212836864
	.type	__hip_cuid_66ba7441cd583099,@object ; @__hip_cuid_66ba7441cd583099
	.section	.bss,"aw",@nobits
	.globl	__hip_cuid_66ba7441cd583099
__hip_cuid_66ba7441cd583099:
	.byte	0                               ; 0x0
	.size	__hip_cuid_66ba7441cd583099, 1

	.ident	"AMD clang version 19.0.0git (https://github.com/RadeonOpenCompute/llvm-project roc-6.4.0 25133 c7fe45cf4b819c5991fe208aaa96edf142730f1d)"
	.section	".note.GNU-stack","",@progbits
	.addrsig
	.addrsig_sym _Z56ncclDevFunc_ReduceScatter_RING_LL_PreMulSum_f8e5m2_0_0_1v
	.addrsig_sym _Z56ncclDevFunc_ReduceScatter_RING_LL_PreMulSum_f8e5m2_0_0_2v
	.addrsig_sym _Z56ncclDevFunc_ReduceScatter_RING_LL_PreMulSum_f8e5m2_0_0_4v
	.addrsig_sym ncclShmem
	.addrsig_sym __hip_cuid_66ba7441cd583099
	.amdgpu_metadata
---
amdhsa.kernels:  []
amdhsa.target:   amdgcn-amd-amdhsa--gfx90a
amdhsa.version:
  - 1
  - 2
...

	.end_amdgpu_metadata
